;; amdgpu-corpus repo=ROCm/rocFFT kind=compiled arch=gfx1100 opt=O3
	.text
	.amdgcn_target "amdgcn-amd-amdhsa--gfx1100"
	.amdhsa_code_object_version 6
	.protected	bluestein_single_back_len357_dim1_dp_op_CI_CI ; -- Begin function bluestein_single_back_len357_dim1_dp_op_CI_CI
	.globl	bluestein_single_back_len357_dim1_dp_op_CI_CI
	.p2align	8
	.type	bluestein_single_back_len357_dim1_dp_op_CI_CI,@function
bluestein_single_back_len357_dim1_dp_op_CI_CI: ; @bluestein_single_back_len357_dim1_dp_op_CI_CI
; %bb.0:
	s_load_b128 s[16:19], s[0:1], 0x28
	v_mul_u32_u24_e32 v1, 0xf10, v0
	s_mov_b32 s2, exec_lo
	s_delay_alu instid0(VALU_DEP_1) | instskip(NEXT) | instid1(VALU_DEP_1)
	v_lshrrev_b32_e32 v1, 16, v1
	v_mad_u64_u32 v[143:144], null, s15, 11, v[1:2]
	v_mov_b32_e32 v144, 0
	s_waitcnt lgkmcnt(0)
	s_delay_alu instid0(VALU_DEP_1)
	v_cmpx_gt_u64_e64 s[16:17], v[143:144]
	s_cbranch_execz .LBB0_15
; %bb.1:
	s_clause 0x1
	s_load_b128 s[4:7], s[0:1], 0x18
	s_load_b64 s[12:13], s[0:1], 0x0
	v_mul_lo_u16 v1, v1, 17
	s_delay_alu instid0(VALU_DEP_1)
	v_sub_nc_u16 v2, v0, v1
	s_waitcnt lgkmcnt(0)
	s_load_b128 s[8:11], s[4:5], 0x0
	s_waitcnt lgkmcnt(0)
	v_mad_u64_u32 v[0:1], null, s10, v143, 0
	s_mul_i32 s3, s9, 21
	s_mul_hi_u32 s4, s8, 21
	s_delay_alu instid0(SALU_CYCLE_1) | instskip(NEXT) | instid1(VALU_DEP_1)
	s_add_i32 s3, s4, s3
	v_mad_u64_u32 v[5:6], null, s11, v143, v[1:2]
	s_delay_alu instid0(VALU_DEP_1) | instskip(NEXT) | instid1(VALU_DEP_1)
	v_dual_mov_b32 v1, v5 :: v_dual_and_b32 v174, 0xffff, v2
	v_mad_u64_u32 v[3:4], null, s8, v174, 0
	v_lshlrev_b32_e32 v70, 4, v174
	s_clause 0x1
	global_load_b128 v[169:172], v70, s[12:13]
	global_load_b128 v[183:186], v70, s[12:13] offset:336
	v_mad_u64_u32 v[6:7], null, s9, v174, v[4:5]
	v_mul_hi_u32 v7, 0xba2e8ba3, v143
	v_lshlrev_b64 v[0:1], 4, v[0:1]
	v_add_co_u32 v12, s2, s12, v70
	s_delay_alu instid0(VALU_DEP_1) | instskip(SKIP_1) | instid1(VALU_DEP_3)
	v_add_co_ci_u32_e64 v13, null, s13, 0, s2
	s_mul_i32 s2, s8, 21
	v_add_co_u32 v8, vcc_lo, s18, v0
	v_lshrrev_b32_e32 v7, 3, v7
	v_add_co_ci_u32_e32 v9, vcc_lo, s19, v1, vcc_lo
	s_lshl_b64 s[14:15], s[2:3], 4
	s_clause 0x3
	global_load_b128 v[179:182], v70, s[12:13] offset:672
	global_load_b128 v[191:194], v70, s[12:13] offset:1008
	;; [unrolled: 1-line block ×4, first 2 shown]
	v_mul_lo_u32 v7, v7, 11
	s_clause 0x5
	global_load_b128 v[145:148], v70, s[12:13] offset:2016
	global_load_b128 v[149:152], v70, s[12:13] offset:2352
	;; [unrolled: 1-line block ×6, first 2 shown]
	scratch_store_b64 off, v[12:13], off offset:212 ; 8-byte Folded Spill
	global_load_b128 v[175:178], v70, s[12:13] offset:4032
	v_sub_nc_u32_e32 v7, v143, v7
	s_delay_alu instid0(VALU_DEP_1) | instskip(SKIP_1) | instid1(VALU_DEP_1)
	v_mul_u32_u24_e32 v7, 0x165, v7
	v_mov_b32_e32 v4, v6
	v_lshlrev_b64 v[3:4], 4, v[3:4]
	s_delay_alu instid0(VALU_DEP_1) | instskip(NEXT) | instid1(VALU_DEP_2)
	v_add_co_u32 v0, vcc_lo, v8, v3
	v_add_co_ci_u32_e32 v1, vcc_lo, v9, v4, vcc_lo
	s_delay_alu instid0(VALU_DEP_2) | instskip(NEXT) | instid1(VALU_DEP_2)
	v_add_co_u32 v10, vcc_lo, v0, s14
	v_add_co_ci_u32_e32 v11, vcc_lo, s15, v1, vcc_lo
	s_delay_alu instid0(VALU_DEP_2) | instskip(NEXT) | instid1(VALU_DEP_2)
	v_add_co_u32 v14, vcc_lo, v10, s14
	v_add_co_ci_u32_e32 v15, vcc_lo, s15, v11, vcc_lo
	v_add_co_u32 v71, vcc_lo, 0x1000, v12
	v_add_co_ci_u32_e32 v72, vcc_lo, 0, v13, vcc_lo
	s_delay_alu instid0(VALU_DEP_4) | instskip(NEXT) | instid1(VALU_DEP_4)
	v_add_co_u32 v18, vcc_lo, v14, s14
	v_add_co_ci_u32_e32 v19, vcc_lo, s15, v15, vcc_lo
	s_clause 0x1
	global_load_b128 v[187:190], v[71:72], off offset:272
	global_load_b128 v[195:198], v[71:72], off offset:608
	v_add_co_u32 v22, vcc_lo, v18, s14
	v_add_co_ci_u32_e32 v23, vcc_lo, s15, v19, vcc_lo
	s_clause 0x1
	global_load_b128 v[3:6], v[0:1], off
	global_load_b128 v[10:13], v[10:11], off
	v_add_co_u32 v0, vcc_lo, v22, s14
	v_add_co_ci_u32_e32 v1, vcc_lo, s15, v23, vcc_lo
	s_clause 0x1
	global_load_b128 v[14:17], v[14:15], off
	global_load_b128 v[18:21], v[18:19], off
	v_add_co_u32 v30, vcc_lo, v0, s14
	v_add_co_ci_u32_e32 v31, vcc_lo, s15, v1, vcc_lo
	global_load_b128 v[26:29], v[0:1], off
	v_add_co_u32 v34, vcc_lo, v30, s14
	v_add_co_ci_u32_e32 v35, vcc_lo, s15, v31, vcc_lo
	;; [unrolled: 3-line block ×11, first 2 shown]
	global_load_b128 v[62:65], v[62:63], off
	global_load_b128 v[66:69], v[66:67], off
	global_load_b128 v[211:214], v[71:72], off offset:944
	scratch_store_b64 off, v[71:72], off offset:220 ; 8-byte Folded Spill
	global_load_b128 v[207:210], v[71:72], off offset:1280
	global_load_b128 v[71:74], v[0:1], off
	scratch_store_b32 off, v7, off offset:824 ; 4-byte Folded Spill
	v_dual_mov_b32 v144, v143 :: v_dual_lshlrev_b32 v7, 4, v7
	v_cmp_gt_u16_e32 vcc_lo, 4, v2
	v_or_b32_e32 v2, 0x50, v174
	s_waitcnt vmcnt(33)
	scratch_store_b128 off, v[169:172], off offset:332 ; 16-byte Folded Spill
	s_waitcnt vmcnt(32)
	scratch_store_b128 off, v[183:186], off offset:380 ; 16-byte Folded Spill
	s_waitcnt vmcnt(31)
	scratch_store_b128 off, v[179:182], off offset:364 ; 16-byte Folded Spill
	s_waitcnt vmcnt(30)
	scratch_store_b128 off, v[191:194], off offset:412 ; 16-byte Folded Spill
	s_waitcnt vmcnt(29)
	scratch_store_b128 off, v[199:202], off offset:444 ; 16-byte Folded Spill
	s_waitcnt vmcnt(28)
	scratch_store_b128 off, v[203:206], off offset:460 ; 16-byte Folded Spill
	s_waitcnt vmcnt(25)
	s_clause 0x1
	scratch_store_b128 off, v[153:156], off offset:268
	scratch_store_b128 off, v[149:152], off offset:252
	s_waitcnt vmcnt(24)
	scratch_store_b128 off, v[157:160], off offset:284 ; 16-byte Folded Spill
	s_waitcnt vmcnt(23)
	scratch_store_b128 off, v[161:164], off offset:300 ; 16-byte Folded Spill
	;; [unrolled: 2-line block ×3, first 2 shown]
	s_waitcnt vmcnt(21)
	s_clause 0x1
	scratch_store_b128 off, v[175:178], off offset:348
	scratch_store_b128 off, v[145:148], off offset:236
	s_waitcnt vmcnt(20)
	scratch_store_b128 off, v[187:190], off offset:396 ; 16-byte Folded Spill
	s_waitcnt vmcnt(19)
	scratch_store_b128 off, v[195:198], off offset:428 ; 16-byte Folded Spill
	s_waitcnt vmcnt(18)
	v_mul_f64 v[75:76], v[5:6], v[171:172]
	v_mul_f64 v[77:78], v[3:4], v[171:172]
	s_waitcnt vmcnt(17)
	v_mul_f64 v[79:80], v[12:13], v[185:186]
	v_mul_f64 v[81:82], v[10:11], v[185:186]
	;; [unrolled: 3-line block ×10, first 2 shown]
	v_fma_f64 v[3:4], v[3:4], v[169:170], v[75:76]
	v_fma_f64 v[5:6], v[5:6], v[169:170], -v[77:78]
	v_fma_f64 v[10:11], v[10:11], v[183:184], v[79:80]
	s_waitcnt vmcnt(8)
	v_mul_f64 v[115:116], v[48:49], v[163:164]
	v_mul_f64 v[117:118], v[46:47], v[163:164]
	v_fma_f64 v[12:13], v[12:13], v[183:184], -v[81:82]
	v_fma_f64 v[14:15], v[14:15], v[179:180], v[83:84]
	v_fma_f64 v[16:17], v[16:17], v[179:180], -v[85:86]
	s_waitcnt vmcnt(7)
	v_mul_f64 v[119:120], v[52:53], v[167:168]
	v_mul_f64 v[121:122], v[50:51], v[167:168]
	v_fma_f64 v[18:19], v[18:19], v[191:192], v[87:88]
	v_fma_f64 v[20:21], v[20:21], v[191:192], -v[89:90]
	v_fma_f64 v[26:27], v[26:27], v[203:204], v[95:96]
	s_waitcnt vmcnt(6)
	v_mul_f64 v[123:124], v[56:57], v[177:178]
	v_mul_f64 v[125:126], v[54:55], v[177:178]
	v_fma_f64 v[28:29], v[28:29], v[203:204], -v[97:98]
	v_fma_f64 v[22:23], v[22:23], v[199:200], v[91:92]
	v_fma_f64 v[24:25], v[24:25], v[199:200], -v[93:94]
	s_waitcnt vmcnt(5)
	v_mul_f64 v[127:128], v[60:61], v[189:190]
	v_mul_f64 v[129:130], v[58:59], v[189:190]
	s_waitcnt vmcnt(4)
	v_mul_f64 v[131:132], v[64:65], v[197:198]
	v_mul_f64 v[133:134], v[62:63], v[197:198]
	;; [unrolled: 3-line block ×4, first 2 shown]
	v_fma_f64 v[30:31], v[30:31], v[145:146], v[99:100]
	v_fma_f64 v[32:33], v[32:33], v[145:146], -v[101:102]
	v_fma_f64 v[38:39], v[38:39], v[153:154], v[107:108]
	v_fma_f64 v[40:41], v[40:41], v[153:154], -v[109:110]
	;; [unrolled: 2-line block ×3, first 2 shown]
	s_clause 0x1
	scratch_store_b128 off, v[211:214], off offset:492
	scratch_store_b128 off, v[207:210], off offset:476
	v_add_nc_u32_e32 v99, v70, v7
	v_fma_f64 v[42:43], v[42:43], v[157:158], v[111:112]
	v_fma_f64 v[44:45], v[44:45], v[157:158], -v[113:114]
	scratch_store_b64 off, v[144:145], off offset:228 ; 8-byte Folded Spill
	s_load_b64 s[10:11], s[0:1], 0x38
	s_load_b128 s[4:7], s[6:7], 0x0
	v_fma_f64 v[46:47], v[46:47], v[161:162], v[115:116]
	v_fma_f64 v[48:49], v[48:49], v[161:162], -v[117:118]
	v_fma_f64 v[50:51], v[50:51], v[165:166], v[119:120]
	v_fma_f64 v[52:53], v[52:53], v[165:166], -v[121:122]
	ds_store_b128 v99, v[3:6]
	ds_store_b128 v99, v[10:13] offset:336
	ds_store_b128 v99, v[14:17] offset:672
	;; [unrolled: 1-line block ×11, first 2 shown]
	v_fma_f64 v[54:55], v[54:55], v[175:176], v[123:124]
	v_fma_f64 v[56:57], v[56:57], v[175:176], -v[125:126]
	v_fma_f64 v[58:59], v[58:59], v[187:188], v[127:128]
	v_fma_f64 v[60:61], v[60:61], v[187:188], -v[129:130]
	;; [unrolled: 2-line block ×5, first 2 shown]
	scratch_store_b32 off, v2, off offset:860 ; 4-byte Folded Spill
	v_or_b32_e32 v2, 0xa4, v174
	scratch_store_b32 off, v2, off offset:856 ; 4-byte Folded Spill
	v_or_b32_e32 v2, 0xf8, v174
	;; [unrolled: 2-line block ×3, first 2 shown]
	scratch_store_b32 off, v2, off offset:848 ; 4-byte Folded Spill
	ds_store_b128 v99, v[54:57] offset:4032
	ds_store_b128 v99, v[58:61] offset:4368
	;; [unrolled: 1-line block ×5, first 2 shown]
	s_and_saveexec_b32 s3, vcc_lo
	s_cbranch_execz .LBB0_3
; %bb.2:
	scratch_load_b64 v[95:96], off, off offset:212 ; 8-byte Folded Reload
	v_or_b32_e32 v16, 0x50, v174
	v_mad_u64_u32 v[12:13], null, 0xffffec10, s8, v[0:1]
	v_or_b32_e32 v29, 0xa4, v174
	v_or_b32_e32 v63, 0xf8, v174
	s_delay_alu instid0(VALU_DEP_4) | instskip(SKIP_1) | instid1(VALU_DEP_3)
	v_mad_u64_u32 v[10:11], null, s8, v16, 0
	s_mul_i32 s2, s9, 0xffffec10
	v_mad_u64_u32 v[42:43], null, s8, v29, 0
	s_delay_alu instid0(VALU_DEP_3) | instskip(SKIP_1) | instid1(VALU_DEP_3)
	v_mad_u64_u32 v[75:76], null, s8, v63, 0
	s_sub_i32 s2, s2, s8
	v_mad_u64_u32 v[14:15], null, s9, v16, v[11:12]
	s_delay_alu instid0(VALU_DEP_3) | instskip(SKIP_2) | instid1(VALU_DEP_2)
	v_dual_mov_b32 v26, v43 :: v_dual_add_nc_u32 v13, s2, v13
	v_add_co_u32 v15, s2, v12, s14
	s_mul_i32 s16, s9, 0x2a0
	v_add_co_ci_u32_e64 v16, s2, s15, v13, s2
	s_delay_alu instid0(VALU_DEP_4) | instskip(NEXT) | instid1(VALU_DEP_3)
	v_dual_mov_b32 v11, v14 :: v_dual_mov_b32 v60, v76
	v_add_co_u32 v22, s2, v15, s14
	v_mad_u64_u32 v[27:28], null, s9, v29, v[26:27]
	s_delay_alu instid0(VALU_DEP_3) | instskip(SKIP_4) | instid1(VALU_DEP_2)
	v_lshlrev_b64 v[24:25], 4, v[10:11]
	s_mul_hi_u32 s17, s8, 0x2a0
	v_add_co_ci_u32_e64 v23, s2, s15, v16, s2
	s_add_i32 s16, s17, s16
	s_mul_i32 s17, s8, 0x2a0
	v_add_co_u32 v24, s2, v8, v24
	v_or_b32_e32 v97, 0x14c, v174
	v_add_co_ci_u32_e64 v25, s2, v9, v25, s2
	v_mad_u64_u32 v[61:62], null, s9, v63, v[60:61]
	v_add_co_u32 v34, s2, v22, s17
	s_delay_alu instid0(VALU_DEP_1) | instskip(SKIP_4) | instid1(VALU_DEP_1)
	v_add_co_ci_u32_e64 v35, s2, s16, v23, s2
	v_mov_b32_e32 v43, v27
	v_mad_u64_u32 v[91:92], null, s8, v97, 0
	v_mov_b32_e32 v76, v61
	v_add_co_u32 v44, s2, v34, s14
	v_add_co_ci_u32_e64 v45, s2, s15, v35, s2
	v_lshlrev_b64 v[42:43], 4, v[42:43]
	s_delay_alu instid0(VALU_DEP_3) | instskip(SKIP_1) | instid1(VALU_DEP_4)
	v_add_co_u32 v58, s2, v44, s14
	v_dual_mov_b32 v79, v92 :: v_dual_lshlrev_b32 v108, 4, v97
	v_add_co_ci_u32_e64 v59, s2, s15, v45, s2
	s_delay_alu instid0(VALU_DEP_4) | instskip(NEXT) | instid1(VALU_DEP_1)
	v_add_co_u32 v54, s2, v8, v42
	v_add_co_ci_u32_e64 v55, s2, v9, v43, s2
	v_add_co_u32 v66, s2, v58, s17
	v_mad_u64_u32 v[80:81], null, s9, v97, v[79:80]
	v_add_co_ci_u32_e64 v67, s2, s16, v59, s2
	s_delay_alu instid0(VALU_DEP_3) | instskip(SKIP_1) | instid1(VALU_DEP_3)
	v_add_co_u32 v77, s2, v66, s14
	v_lshlrev_b64 v[75:76], 4, v[75:76]
	v_add_co_ci_u32_e64 v78, s2, s15, v67, s2
	v_mov_b32_e32 v92, v80
	s_delay_alu instid0(VALU_DEP_4) | instskip(NEXT) | instid1(VALU_DEP_1)
	v_add_co_u32 v93, s2, v77, s14
	v_add_co_ci_u32_e64 v94, s2, s15, v78, s2
	v_add_co_u32 v87, s2, v8, v75
	s_delay_alu instid0(VALU_DEP_4) | instskip(SKIP_2) | instid1(VALU_DEP_1)
	v_lshlrev_b64 v[91:92], 4, v[91:92]
	v_add_co_ci_u32_e64 v88, s2, v9, v76, s2
	v_add_co_u32 v112, s2, v93, s17
	v_add_co_ci_u32_e64 v113, s2, s16, v94, s2
	s_delay_alu instid0(VALU_DEP_4) | instskip(NEXT) | instid1(VALU_DEP_1)
	v_add_co_u32 v8, s2, v8, v91
	v_add_co_ci_u32_e64 v9, s2, v9, v92, s2
	s_waitcnt vmcnt(0)
	s_clause 0x1
	global_load_b128 v[4:7], v[95:96], off offset:272
	global_load_b128 v[0:3], v[95:96], off offset:608
	global_load_b128 v[10:13], v[12:13], off
	global_load_b128 v[14:17], v[15:16], off
	global_load_b128 v[18:21], v[22:23], off
	global_load_b128 v[22:25], v[24:25], off
	s_clause 0x1
	global_load_b128 v[26:29], v[95:96], off offset:944
	global_load_b128 v[30:33], v[95:96], off offset:1280
	global_load_b128 v[34:37], v[34:35], off
	global_load_b128 v[38:41], v[44:45], off
	s_clause 0x1
	global_load_b128 v[42:45], v[95:96], off offset:1616
	global_load_b128 v[46:49], v[95:96], off offset:1952
	global_load_b128 v[50:53], v[58:59], off
	global_load_b128 v[54:57], v[54:55], off
	;; [unrolled: 5-line block ×5, first 2 shown]
	global_load_b128 v[108:111], v108, s[12:13]
	scratch_load_b64 v[132:133], off, off offset:220 ; 8-byte Folded Reload
	v_add_co_u32 v8, s2, v112, s14
	s_delay_alu instid0(VALU_DEP_1) | instskip(NEXT) | instid1(VALU_DEP_2)
	v_add_co_ci_u32_e64 v9, s2, s15, v113, s2
	v_add_co_u32 v124, s2, v8, s14
	s_delay_alu instid0(VALU_DEP_1) | instskip(SKIP_2) | instid1(VALU_DEP_1)
	v_add_co_ci_u32_e64 v125, s2, s15, v9, s2
	global_load_b128 v[116:119], v[8:9], off
	v_add_co_u32 v8, s2, v124, s17
	v_add_co_ci_u32_e64 v9, s2, s16, v125, s2
	s_waitcnt vmcnt(25)
	v_mul_f64 v[140:141], v[16:17], v[2:3]
	v_mul_f64 v[142:143], v[14:15], v[2:3]
	s_waitcnt vmcnt(22)
	v_mul_f64 v[144:145], v[20:21], v[28:29]
	v_mul_f64 v[28:29], v[18:19], v[28:29]
	;; [unrolled: 3-line block ×4, first 2 shown]
	s_waitcnt vmcnt(17)
	v_mul_f64 v[148:149], v[40:41], v[48:49]
	s_waitcnt vmcnt(1)
	s_clause 0x1
	global_load_b128 v[112:115], v[132:133], off offset:208
	global_load_b128 v[120:123], v[132:133], off offset:544
	global_load_b128 v[124:127], v[124:125], off
	s_clause 0x1
	global_load_b128 v[128:131], v[132:133], off offset:880
	global_load_b128 v[132:135], v[132:133], off offset:1552
	global_load_b128 v[136:139], v[8:9], off
	v_mul_f64 v[8:9], v[12:13], v[6:7]
	v_mul_f64 v[6:7], v[10:11], v[6:7]
	;; [unrolled: 1-line block ×17, first 2 shown]
	v_fma_f64 v[22:23], v[22:23], v[30:31], v[150:151]
	v_fma_f64 v[24:25], v[24:25], v[30:31], -v[32:33]
	v_fma_f64 v[2:3], v[10:11], v[4:5], v[8:9]
	v_fma_f64 v[4:5], v[12:13], v[4:5], -v[6:7]
	v_fma_f64 v[6:7], v[14:15], v[0:1], v[140:141]
	v_fma_f64 v[8:9], v[16:17], v[0:1], -v[142:143]
	v_fma_f64 v[10:11], v[18:19], v[26:27], v[144:145]
	v_fma_f64 v[12:13], v[20:21], v[26:27], -v[28:29]
	v_fma_f64 v[14:15], v[34:35], v[42:43], v[146:147]
	v_fma_f64 v[16:17], v[36:37], v[42:43], -v[44:45]
	v_fma_f64 v[18:19], v[38:39], v[46:47], v[148:149]
	v_fma_f64 v[20:21], v[40:41], v[46:47], -v[48:49]
	v_fma_f64 v[38:39], v[50:51], v[58:59], v[158:159]
	v_fma_f64 v[40:41], v[52:53], v[58:59], -v[60:61]
	v_fma_f64 v[26:27], v[54:55], v[62:63], v[152:153]
	v_fma_f64 v[28:29], v[56:57], v[62:63], -v[64:65]
	v_fma_f64 v[42:43], v[66:67], v[75:76], v[160:161]
	v_fma_f64 v[44:45], v[68:69], v[75:76], -v[77:78]
	v_fma_f64 v[46:47], v[71:72], v[79:80], v[162:163]
	v_fma_f64 v[48:49], v[73:74], v[79:80], -v[81:82]
	v_fma_f64 v[50:51], v[83:84], v[91:92], v[164:165]
	v_fma_f64 v[52:53], v[85:86], v[91:92], -v[93:94]
	v_fma_f64 v[30:31], v[87:88], v[95:96], v[154:155]
	v_fma_f64 v[32:33], v[89:90], v[95:96], -v[97:98]
	v_fma_f64 v[34:35], v[104:105], v[108:109], v[156:157]
	v_fma_f64 v[36:37], v[106:107], v[108:109], -v[110:111]
	s_waitcnt vmcnt(4)
	v_mul_f64 v[168:169], v[118:119], v[122:123]
	v_mul_f64 v[122:123], v[116:117], v[122:123]
	s_waitcnt vmcnt(2)
	v_mul_f64 v[170:171], v[126:127], v[130:131]
	v_mul_f64 v[166:167], v[102:103], v[114:115]
	;; [unrolled: 1-line block ×4, first 2 shown]
	s_waitcnt vmcnt(0)
	v_mul_f64 v[172:173], v[138:139], v[134:135]
	v_mul_f64 v[134:135], v[136:137], v[134:135]
	v_fma_f64 v[58:59], v[116:117], v[120:121], v[168:169]
	v_fma_f64 v[60:61], v[118:119], v[120:121], -v[122:123]
	v_fma_f64 v[62:63], v[124:125], v[128:129], v[170:171]
	v_fma_f64 v[54:55], v[100:101], v[112:113], v[166:167]
	v_fma_f64 v[56:57], v[102:103], v[112:113], -v[114:115]
	v_fma_f64 v[64:65], v[126:127], v[128:129], -v[130:131]
	v_fma_f64 v[66:67], v[136:137], v[132:133], v[172:173]
	v_fma_f64 v[68:69], v[138:139], v[132:133], -v[134:135]
	ds_store_b128 v99, v[2:5] offset:272
	ds_store_b128 v99, v[6:9] offset:608
	;; [unrolled: 1-line block ×17, first 2 shown]
.LBB0_3:
	s_or_b32 exec_lo, exec_lo, s3
	scratch_store_b32 off, v174, off        ; 4-byte Folded Spill
	s_waitcnt lgkmcnt(0)
	s_waitcnt_vscnt null, 0x0
	s_barrier
	buffer_gl0_inv
	ds_load_b128 v[0:3], v99
	ds_load_b128 v[4:7], v99 offset:336
	ds_load_b128 v[8:11], v99 offset:672
	ds_load_b128 v[16:19], v99 offset:1008
	ds_load_b128 v[24:27], v99 offset:1344
	ds_load_b128 v[32:35], v99 offset:1680
	ds_load_b128 v[44:47], v99 offset:2016
	ds_load_b128 v[52:55], v99 offset:2352
	ds_load_b128 v[64:67], v99 offset:2688
	ds_load_b128 v[60:63], v99 offset:3024
	ds_load_b128 v[56:59], v99 offset:3360
	ds_load_b128 v[48:51], v99 offset:3696
	ds_load_b128 v[40:43], v99 offset:4032
	ds_load_b128 v[36:39], v99 offset:4368
	ds_load_b128 v[28:31], v99 offset:4704
	ds_load_b128 v[20:23], v99 offset:5040
	ds_load_b128 v[12:15], v99 offset:5376
	s_load_b64 s[0:1], s[0:1], 0x8
                                        ; implicit-def: $vgpr100_vgpr101
                                        ; implicit-def: $vgpr108_vgpr109
                                        ; implicit-def: $vgpr112_vgpr113
                                        ; implicit-def: $vgpr124_vgpr125
                                        ; implicit-def: $vgpr144_vgpr145
                                        ; implicit-def: $vgpr156_vgpr157
                                        ; implicit-def: $vgpr176_vgpr177
                                        ; implicit-def: $vgpr184_vgpr185
                                        ; implicit-def: $vgpr180_vgpr181
                                        ; implicit-def: $vgpr172_vgpr173
                                        ; implicit-def: $vgpr168_vgpr169
                                        ; implicit-def: $vgpr148_vgpr149
                                        ; implicit-def: $vgpr140_vgpr141
                                        ; implicit-def: $vgpr132_vgpr133
                                        ; implicit-def: $vgpr120_vgpr121
                                        ; implicit-def: $vgpr116_vgpr117
                                        ; implicit-def: $vgpr128_vgpr129
	s_and_saveexec_b32 s2, vcc_lo
	s_cbranch_execz .LBB0_5
; %bb.4:
	ds_load_b128 v[100:103], v99 offset:272
	ds_load_b128 v[108:111], v99 offset:608
	ds_load_b128 v[112:115], v99 offset:944
	ds_load_b128 v[124:127], v99 offset:1280
	ds_load_b128 v[144:147], v99 offset:1616
	ds_load_b128 v[156:159], v99 offset:1952
	ds_load_b128 v[176:179], v99 offset:2288
	ds_load_b128 v[184:187], v99 offset:2624
	ds_load_b128 v[180:183], v99 offset:2960
	ds_load_b128 v[172:175], v99 offset:3296
	ds_load_b128 v[168:171], v99 offset:3632
	ds_load_b128 v[148:151], v99 offset:3968
	ds_load_b128 v[140:143], v99 offset:4304
	ds_load_b128 v[132:135], v99 offset:4640
	ds_load_b128 v[120:123], v99 offset:4976
	ds_load_b128 v[116:119], v99 offset:5312
	ds_load_b128 v[128:131], v99 offset:5648
.LBB0_5:
	s_or_b32 exec_lo, exec_lo, s2
	s_waitcnt lgkmcnt(0)
	v_add_f64 v[68:69], v[0:1], v[4:5]
	v_add_f64 v[71:72], v[2:3], v[6:7]
	v_add_f64 v[77:78], v[66:67], -v[62:63]
	v_add_f64 v[75:76], v[64:65], -v[60:61]
	v_add_f64 v[81:82], v[46:47], v[50:51]
	v_add_f64 v[104:105], v[44:45], -v[48:49]
	v_add_f64 v[106:107], v[46:47], -v[50:51]
	v_add_f64 v[83:84], v[32:33], v[40:41]
	v_add_f64 v[85:86], v[34:35], v[42:43]
	v_add_f64 v[136:137], v[32:33], -v[40:41]
	v_add_f64 v[138:139], v[34:35], -v[42:43]
	v_add_f64 v[87:88], v[24:25], v[36:37]
	;; [unrolled: 4-line block ×4, first 2 shown]
	v_add_f64 v[97:98], v[10:11], v[22:23]
	v_add_f64 v[164:165], v[8:9], -v[20:21]
	v_add_f64 v[166:167], v[10:11], -v[22:23]
	s_mov_b32 s36, 0x5d8e7cdc
	s_mov_b32 s40, 0x2a9d6da3
	;; [unrolled: 1-line block ×15, first 2 shown]
	v_add_f64 v[68:69], v[68:69], v[8:9]
	v_add_f64 v[71:72], v[71:72], v[10:11]
	s_mov_b32 s35, 0xbfc7851a
	s_mov_b32 s24, 0x370991
	;; [unrolled: 1-line block ×33, first 2 shown]
	v_add_f64 v[246:247], v[108:109], v[128:129]
	v_add_f64 v[250:251], v[110:111], v[130:131]
	v_add_f64 v[224:225], v[126:127], -v[122:123]
	v_add_f64 v[68:69], v[68:69], v[16:17]
	v_add_f64 v[71:72], v[71:72], v[18:19]
	v_add_f64 v[228:229], v[124:125], -v[120:121]
	v_add_f64 v[232:233], v[146:147], -v[134:135]
	v_add_f64 v[236:237], v[144:145], -v[132:133]
	v_add_f64 v[240:241], v[158:159], -v[142:143]
	v_add_f64 v[244:245], v[156:157], -v[140:141]
	v_add_f64 v[226:227], v[158:159], v[142:143]
	v_add_f64 v[248:249], v[176:177], -v[148:149]
	v_add_f64 v[234:235], v[178:179], v[150:151]
	v_add_f64 v[252:253], v[186:187], -v[170:171]
	;; [unrolled: 2-line block ×3, first 2 shown]
	v_add_f64 v[230:231], v[180:181], v[172:173]
	v_add_f64 v[242:243], v[182:183], v[174:175]
	;; [unrolled: 1-line block ×4, first 2 shown]
	s_delay_alu instid0(VALU_DEP_2) | instskip(NEXT) | instid1(VALU_DEP_2)
	v_add_f64 v[68:69], v[68:69], v[32:33]
	v_add_f64 v[71:72], v[71:72], v[34:35]
	s_delay_alu instid0(VALU_DEP_2) | instskip(NEXT) | instid1(VALU_DEP_2)
	v_add_f64 v[68:69], v[68:69], v[44:45]
	v_add_f64 v[71:72], v[71:72], v[46:47]
	;; [unrolled: 3-line block ×4, first 2 shown]
	v_add_f64 v[64:65], v[64:65], v[60:61]
	v_add_f64 v[66:67], v[66:67], v[62:63]
	s_delay_alu instid0(VALU_DEP_4) | instskip(NEXT) | instid1(VALU_DEP_4)
	v_add_f64 v[68:69], v[71:72], v[60:61]
	v_add_f64 v[79:80], v[73:74], v[62:63]
	;; [unrolled: 1-line block ×4, first 2 shown]
	v_add_f64 v[60:61], v[52:53], -v[56:57]
	v_add_f64 v[62:63], v[54:55], -v[58:59]
	v_add_f64 v[52:53], v[68:69], v[56:57]
	v_add_f64 v[54:55], v[79:80], v[58:59]
	;; [unrolled: 1-line block ×3, first 2 shown]
	s_delay_alu instid0(VALU_DEP_3) | instskip(NEXT) | instid1(VALU_DEP_3)
	v_add_f64 v[44:45], v[52:53], v[48:49]
	v_add_f64 v[46:47], v[54:55], v[50:51]
	s_delay_alu instid0(VALU_DEP_2) | instskip(NEXT) | instid1(VALU_DEP_2)
	v_add_f64 v[32:33], v[44:45], v[40:41]
	v_add_f64 v[34:35], v[46:47], v[42:43]
	s_delay_alu instid0(VALU_DEP_2) | instskip(NEXT) | instid1(VALU_DEP_2)
	;; [unrolled: 3-line block ×4, first 2 shown]
	v_add_f64 v[8:9], v[16:17], v[20:21]
	v_add_f64 v[10:11], v[18:19], v[22:23]
	v_add_f64 v[16:17], v[6:7], -v[14:15]
	v_add_f64 v[18:19], v[4:5], v[12:13]
	v_add_f64 v[20:21], v[6:7], v[14:15]
	v_add_f64 v[22:23], v[4:5], -v[12:13]
	v_add_f64 v[4:5], v[8:9], v[12:13]
	v_add_f64 v[6:7], v[10:11], v[14:15]
	v_mul_f64 v[8:9], v[16:17], s[36:37]
	v_mul_f64 v[10:11], v[16:17], s[40:41]
	;; [unrolled: 1-line block ×13, first 2 shown]
	scratch_store_b128 off, v[4:7], off offset:508 ; 16-byte Folded Spill
	v_fma_f64 v[30:31], v[18:19], s[24:25], -v[8:9]
	v_fma_f64 v[8:9], v[18:19], s[24:25], v[8:9]
	v_fma_f64 v[32:33], v[18:19], s[22:23], -v[10:11]
	v_fma_f64 v[10:11], v[18:19], s[22:23], v[10:11]
	;; [unrolled: 2-line block ×8, first 2 shown]
	v_mul_f64 v[18:19], v[22:23], s[36:37]
	v_mul_f64 v[28:29], v[22:23], s[40:41]
	;; [unrolled: 1-line block ×3, first 2 shown]
	v_fma_f64 v[188:189], v[20:21], s[20:21], v[40:41]
	v_fma_f64 v[190:191], v[20:21], s[18:19], v[42:43]
	v_fma_f64 v[42:43], v[20:21], s[18:19], -v[42:43]
	v_fma_f64 v[192:193], v[20:21], s[16:17], v[46:47]
	v_fma_f64 v[46:47], v[20:21], s[16:17], -v[46:47]
	;; [unrolled: 2-line block ×3, first 2 shown]
	v_fma_f64 v[48:49], v[20:21], s[14:15], -v[48:49]
	v_fma_f64 v[196:197], v[20:21], s[8:9], v[50:51]
	v_fma_f64 v[198:199], v[20:21], s[8:9], -v[50:51]
	v_add_f64 v[204:205], v[0:1], v[30:31]
	v_add_f64 v[208:209], v[0:1], v[8:9]
	;; [unrolled: 1-line block ×7, first 2 shown]
	v_mul_f64 v[14:15], v[162:163], s[42:43]
	v_add_f64 v[50:51], v[0:1], v[26:27]
	v_mul_f64 v[26:27], v[152:153], s[38:39]
	v_fma_f64 v[54:55], v[20:21], s[24:25], v[18:19]
	v_fma_f64 v[58:59], v[20:21], s[22:23], v[28:29]
	v_fma_f64 v[18:19], v[20:21], s[24:25], -v[18:19]
	v_fma_f64 v[28:29], v[20:21], s[22:23], -v[28:29]
	v_fma_f64 v[200:201], v[20:21], s[2:3], v[22:23]
	v_fma_f64 v[202:203], v[20:21], s[2:3], -v[22:23]
	v_add_f64 v[220:221], v[2:3], v[188:189]
	v_add_f64 v[22:23], v[0:1], v[12:13]
	;; [unrolled: 1-line block ×13, first 2 shown]
	v_mul_f64 v[12:13], v[164:165], s[40:41]
	v_mul_f64 v[16:17], v[160:161], s[42:43]
	;; [unrolled: 1-line block ×4, first 2 shown]
	v_fma_f64 v[10:11], v[91:92], s[20:21], -v[14:15]
	v_fma_f64 v[14:15], v[91:92], s[20:21], v[14:15]
	v_add_f64 v[206:207], v[2:3], v[54:55]
	v_add_f64 v[212:213], v[2:3], v[58:59]
	;; [unrolled: 1-line block ×4, first 2 shown]
	v_mul_f64 v[0:1], v[166:167], s[40:41]
	v_add_f64 v[18:19], v[2:3], v[18:19]
	v_add_f64 v[216:217], v[2:3], v[28:29]
	;; [unrolled: 1-line block ×7, first 2 shown]
	v_mul_f64 v[196:197], v[136:137], s[26:27]
	v_mul_f64 v[198:199], v[106:107], s[28:29]
	;; [unrolled: 1-line block ×4, first 2 shown]
	v_fma_f64 v[8:9], v[97:98], s[22:23], v[12:13]
	v_fma_f64 v[12:13], v[97:98], s[22:23], -v[12:13]
	v_fma_f64 v[2:3], v[95:96], s[22:23], -v[0:1]
	v_fma_f64 v[0:1], v[95:96], s[22:23], v[0:1]
	s_delay_alu instid0(VALU_DEP_4) | instskip(NEXT) | instid1(VALU_DEP_4)
	v_add_f64 v[8:9], v[8:9], v[206:207]
	v_add_f64 v[12:13], v[12:13], v[18:19]
	v_mul_f64 v[206:207], v[77:78], s[34:35]
	v_add_f64 v[2:3], v[2:3], v[204:205]
	v_add_f64 v[0:1], v[0:1], v[208:209]
	v_mul_f64 v[204:205], v[60:61], s[30:31]
	v_mul_f64 v[208:209], v[62:63], s[44:45]
	s_delay_alu instid0(VALU_DEP_4) | instskip(SKIP_3) | instid1(VALU_DEP_3)
	v_add_f64 v[2:3], v[10:11], v[2:3]
	v_fma_f64 v[10:11], v[93:94], s[20:21], v[16:17]
	v_add_f64 v[0:1], v[14:15], v[0:1]
	v_fma_f64 v[14:15], v[93:94], s[20:21], -v[16:17]
	v_add_f64 v[8:9], v[10:11], v[8:9]
	v_fma_f64 v[10:11], v[87:88], s[18:19], -v[24:25]
	s_delay_alu instid0(VALU_DEP_3) | instskip(SKIP_2) | instid1(VALU_DEP_4)
	v_add_f64 v[12:13], v[14:15], v[12:13]
	v_fma_f64 v[14:15], v[87:88], s[18:19], v[24:25]
	v_mul_f64 v[24:25], v[164:165], s[38:39]
	v_add_f64 v[2:3], v[10:11], v[2:3]
	v_fma_f64 v[10:11], v[89:90], s[18:19], v[26:27]
	s_delay_alu instid0(VALU_DEP_4)
	v_add_f64 v[0:1], v[14:15], v[0:1]
	v_fma_f64 v[14:15], v[89:90], s[18:19], -v[26:27]
	v_mul_f64 v[26:27], v[162:163], s[28:29]
	v_fma_f64 v[16:17], v[97:98], s[18:19], v[24:25]
	v_fma_f64 v[24:25], v[97:98], s[18:19], -v[24:25]
	v_add_f64 v[8:9], v[10:11], v[8:9]
	v_fma_f64 v[10:11], v[83:84], s[16:17], -v[68:69]
	v_add_f64 v[12:13], v[14:15], v[12:13]
	v_fma_f64 v[14:15], v[83:84], s[16:17], v[68:69]
	v_fma_f64 v[18:19], v[91:92], s[14:15], -v[26:27]
	v_mul_f64 v[68:69], v[160:161], s[28:29]
	v_add_f64 v[16:17], v[16:17], v[212:213]
	v_fma_f64 v[26:27], v[91:92], s[14:15], v[26:27]
	v_add_f64 v[24:25], v[24:25], v[216:217]
	v_mul_f64 v[212:213], v[77:78], s[46:47]
	v_add_f64 v[2:3], v[10:11], v[2:3]
	v_fma_f64 v[10:11], v[85:86], s[16:17], v[196:197]
	v_add_f64 v[0:1], v[14:15], v[0:1]
	v_fma_f64 v[14:15], v[85:86], s[16:17], -v[196:197]
	v_mul_f64 v[196:197], v[154:155], s[34:35]
	s_delay_alu instid0(VALU_DEP_4) | instskip(SKIP_1) | instid1(VALU_DEP_4)
	v_add_f64 v[8:9], v[10:11], v[8:9]
	v_fma_f64 v[10:11], v[79:80], s[14:15], -v[198:199]
	v_add_f64 v[12:13], v[14:15], v[12:13]
	v_fma_f64 v[14:15], v[79:80], s[14:15], v[198:199]
	v_mul_f64 v[198:199], v[152:153], s[34:35]
	s_delay_alu instid0(VALU_DEP_4) | instskip(SKIP_1) | instid1(VALU_DEP_4)
	v_add_f64 v[2:3], v[10:11], v[2:3]
	v_fma_f64 v[10:11], v[81:82], s[14:15], v[200:201]
	v_add_f64 v[0:1], v[14:15], v[0:1]
	v_fma_f64 v[14:15], v[81:82], s[14:15], -v[200:201]
	v_mul_f64 v[200:201], v[138:139], s[52:53]
	s_delay_alu instid0(VALU_DEP_4) | instskip(SKIP_1) | instid1(VALU_DEP_4)
	v_add_f64 v[8:9], v[10:11], v[8:9]
	v_fma_f64 v[10:11], v[71:72], s[8:9], -v[202:203]
	v_add_f64 v[12:13], v[14:15], v[12:13]
	v_fma_f64 v[14:15], v[71:72], s[8:9], v[202:203]
	v_mul_f64 v[202:203], v[136:137], s[52:53]
	s_delay_alu instid0(VALU_DEP_4) | instskip(SKIP_1) | instid1(VALU_DEP_4)
	;; [unrolled: 12-line block ×3, first 2 shown]
	v_add_f64 v[8:9], v[8:9], v[2:3]
	v_mul_f64 v[2:3], v[75:76], s[34:35]
	v_add_f64 v[0:1], v[14:15], v[0:1]
	s_delay_alu instid0(VALU_DEP_2) | instskip(SKIP_1) | instid1(VALU_DEP_2)
	v_fma_f64 v[222:223], v[66:67], s[2:3], v[2:3]
	v_fma_f64 v[2:3], v[66:67], s[2:3], -v[2:3]
	v_add_f64 v[10:11], v[222:223], v[10:11]
	s_delay_alu instid0(VALU_DEP_2) | instskip(SKIP_1) | instid1(VALU_DEP_1)
	v_add_f64 v[2:3], v[2:3], v[12:13]
	v_mul_f64 v[12:13], v[166:167], s[38:39]
	v_fma_f64 v[14:15], v[95:96], s[18:19], -v[12:13]
	v_fma_f64 v[12:13], v[95:96], s[18:19], v[12:13]
	s_delay_alu instid0(VALU_DEP_2) | instskip(NEXT) | instid1(VALU_DEP_2)
	v_add_f64 v[14:15], v[14:15], v[210:211]
	v_add_f64 v[12:13], v[12:13], v[214:215]
	v_mul_f64 v[210:211], v[60:61], s[44:45]
	s_delay_alu instid0(VALU_DEP_3) | instskip(SKIP_1) | instid1(VALU_DEP_4)
	v_add_f64 v[14:15], v[18:19], v[14:15]
	v_fma_f64 v[18:19], v[93:94], s[14:15], v[68:69]
	v_add_f64 v[12:13], v[26:27], v[12:13]
	v_fma_f64 v[26:27], v[93:94], s[14:15], -v[68:69]
	v_mul_f64 v[68:69], v[166:167], s[28:29]
	s_delay_alu instid0(VALU_DEP_4) | instskip(SKIP_1) | instid1(VALU_DEP_4)
	v_add_f64 v[16:17], v[18:19], v[16:17]
	v_fma_f64 v[18:19], v[87:88], s[2:3], -v[196:197]
	v_add_f64 v[24:25], v[26:27], v[24:25]
	v_fma_f64 v[26:27], v[87:88], s[2:3], v[196:197]
	v_mul_f64 v[196:197], v[164:165], s[28:29]
	s_delay_alu instid0(VALU_DEP_4) | instskip(SKIP_1) | instid1(VALU_DEP_4)
	v_add_f64 v[14:15], v[18:19], v[14:15]
	v_fma_f64 v[18:19], v[89:90], s[2:3], v[198:199]
	v_add_f64 v[12:13], v[26:27], v[12:13]
	v_fma_f64 v[26:27], v[89:90], s[2:3], -v[198:199]
	v_mul_f64 v[198:199], v[162:163], s[58:59]
	s_delay_alu instid0(VALU_DEP_4) | instskip(SKIP_1) | instid1(VALU_DEP_4)
	v_add_f64 v[16:17], v[18:19], v[16:17]
	v_fma_f64 v[18:19], v[83:84], s[8:9], -v[200:201]
	v_add_f64 v[24:25], v[26:27], v[24:25]
	v_fma_f64 v[26:27], v[83:84], s[8:9], v[200:201]
	v_fma_f64 v[200:201], v[91:92], s[2:3], -v[198:199]
	s_delay_alu instid0(VALU_DEP_4) | instskip(SKIP_1) | instid1(VALU_DEP_4)
	v_add_f64 v[14:15], v[18:19], v[14:15]
	v_fma_f64 v[18:19], v[85:86], s[8:9], v[202:203]
	v_add_f64 v[12:13], v[26:27], v[12:13]
	v_fma_f64 v[26:27], v[85:86], s[8:9], -v[202:203]
	s_delay_alu instid0(VALU_DEP_3) | instskip(SKIP_1) | instid1(VALU_DEP_3)
	v_add_f64 v[16:17], v[18:19], v[16:17]
	v_fma_f64 v[18:19], v[79:80], s[16:17], -v[204:205]
	v_add_f64 v[24:25], v[26:27], v[24:25]
	v_fma_f64 v[26:27], v[79:80], s[16:17], v[204:205]
	s_delay_alu instid0(VALU_DEP_3) | instskip(SKIP_1) | instid1(VALU_DEP_3)
	v_add_f64 v[14:15], v[18:19], v[14:15]
	v_fma_f64 v[18:19], v[81:82], s[16:17], v[206:207]
	v_add_f64 v[12:13], v[26:27], v[12:13]
	v_fma_f64 v[26:27], v[81:82], s[16:17], -v[206:207]
	s_delay_alu instid0(VALU_DEP_3) | instskip(SKIP_1) | instid1(VALU_DEP_3)
	v_add_f64 v[16:17], v[18:19], v[16:17]
	v_fma_f64 v[18:19], v[71:72], s[20:21], -v[208:209]
	v_add_f64 v[24:25], v[26:27], v[24:25]
	v_fma_f64 v[26:27], v[71:72], s[20:21], v[208:209]
	s_delay_alu instid0(VALU_DEP_3) | instskip(SKIP_1) | instid1(VALU_DEP_3)
	;; [unrolled: 10-line block ×3, first 2 shown]
	v_add_f64 v[16:17], v[16:17], v[14:15]
	v_mul_f64 v[14:15], v[75:76], s[46:47]
	v_add_f64 v[12:13], v[26:27], v[12:13]
	v_fma_f64 v[26:27], v[97:98], s[14:15], v[196:197]
	s_delay_alu instid0(VALU_DEP_3) | instskip(SKIP_1) | instid1(VALU_DEP_3)
	v_fma_f64 v[222:223], v[66:67], s[24:25], v[14:15]
	v_fma_f64 v[14:15], v[66:67], s[24:25], -v[14:15]
	v_add_f64 v[26:27], v[26:27], v[220:221]
	s_delay_alu instid0(VALU_DEP_3) | instskip(NEXT) | instid1(VALU_DEP_3)
	v_add_f64 v[18:19], v[222:223], v[18:19]
	v_add_f64 v[14:15], v[14:15], v[24:25]
	v_fma_f64 v[24:25], v[95:96], s[14:15], -v[68:69]
	v_fma_f64 v[68:69], v[95:96], s[14:15], v[68:69]
	s_delay_alu instid0(VALU_DEP_2) | instskip(NEXT) | instid1(VALU_DEP_2)
	v_add_f64 v[24:25], v[24:25], v[218:219]
	v_add_f64 v[22:23], v[68:69], v[22:23]
	v_fma_f64 v[68:69], v[97:98], s[14:15], -v[196:197]
	s_delay_alu instid0(VALU_DEP_3) | instskip(SKIP_1) | instid1(VALU_DEP_3)
	v_add_f64 v[24:25], v[200:201], v[24:25]
	v_mul_f64 v[200:201], v[160:161], s[58:59]
	v_add_f64 v[20:21], v[68:69], v[20:21]
	v_fma_f64 v[68:69], v[91:92], s[2:3], v[198:199]
	s_delay_alu instid0(VALU_DEP_3) | instskip(NEXT) | instid1(VALU_DEP_2)
	v_fma_f64 v[202:203], v[93:94], s[2:3], v[200:201]
	v_add_f64 v[22:23], v[68:69], v[22:23]
	v_fma_f64 v[68:69], v[93:94], s[2:3], -v[200:201]
	s_delay_alu instid0(VALU_DEP_3) | instskip(SKIP_1) | instid1(VALU_DEP_3)
	v_add_f64 v[26:27], v[202:203], v[26:27]
	v_mul_f64 v[202:203], v[154:155], s[50:51]
	v_add_f64 v[20:21], v[68:69], v[20:21]
	s_delay_alu instid0(VALU_DEP_2) | instskip(SKIP_1) | instid1(VALU_DEP_2)
	v_fma_f64 v[204:205], v[87:88], s[16:17], -v[202:203]
	v_fma_f64 v[68:69], v[87:88], s[16:17], v[202:203]
	v_add_f64 v[24:25], v[204:205], v[24:25]
	v_mul_f64 v[204:205], v[152:153], s[50:51]
	s_delay_alu instid0(VALU_DEP_3) | instskip(NEXT) | instid1(VALU_DEP_2)
	v_add_f64 v[22:23], v[68:69], v[22:23]
	v_fma_f64 v[206:207], v[89:90], s[16:17], v[204:205]
	v_fma_f64 v[68:69], v[89:90], s[16:17], -v[204:205]
	s_delay_alu instid0(VALU_DEP_2) | instskip(SKIP_1) | instid1(VALU_DEP_3)
	v_add_f64 v[26:27], v[206:207], v[26:27]
	v_mul_f64 v[206:207], v[138:139], s[48:49]
	v_add_f64 v[20:21], v[68:69], v[20:21]
	s_delay_alu instid0(VALU_DEP_2) | instskip(SKIP_1) | instid1(VALU_DEP_2)
	v_fma_f64 v[208:209], v[83:84], s[22:23], -v[206:207]
	v_fma_f64 v[68:69], v[83:84], s[22:23], v[206:207]
	v_add_f64 v[24:25], v[208:209], v[24:25]
	v_mul_f64 v[208:209], v[136:137], s[48:49]
	s_delay_alu instid0(VALU_DEP_3) | instskip(NEXT) | instid1(VALU_DEP_2)
	v_add_f64 v[22:23], v[68:69], v[22:23]
	v_fma_f64 v[210:211], v[85:86], s[22:23], v[208:209]
	v_fma_f64 v[68:69], v[85:86], s[22:23], -v[208:209]
	s_delay_alu instid0(VALU_DEP_2) | instskip(SKIP_1) | instid1(VALU_DEP_3)
	;; [unrolled: 13-line block ×4, first 2 shown]
	v_add_f64 v[26:27], v[218:219], v[26:27]
	v_mul_f64 v[218:219], v[77:78], s[30:31]
	v_add_f64 v[68:69], v[68:69], v[20:21]
	s_delay_alu instid0(VALU_DEP_2) | instskip(SKIP_1) | instid1(VALU_DEP_2)
	v_fma_f64 v[220:221], v[64:65], s[8:9], -v[218:219]
	v_fma_f64 v[20:21], v[64:65], s[8:9], v[218:219]
	v_add_f64 v[24:25], v[220:221], v[24:25]
	v_mul_f64 v[220:221], v[75:76], s[30:31]
	s_delay_alu instid0(VALU_DEP_3) | instskip(NEXT) | instid1(VALU_DEP_2)
	v_add_f64 v[20:21], v[20:21], v[22:23]
	v_fma_f64 v[196:197], v[66:67], s[8:9], -v[220:221]
	v_fma_f64 v[222:223], v[66:67], s[8:9], v[220:221]
	v_mul_f64 v[220:221], v[77:78], s[48:49]
	s_delay_alu instid0(VALU_DEP_3) | instskip(SKIP_1) | instid1(VALU_DEP_4)
	v_add_f64 v[22:23], v[196:197], v[68:69]
	v_mul_f64 v[68:69], v[166:167], s[34:35]
	v_add_f64 v[26:27], v[222:223], v[26:27]
	v_mul_f64 v[222:223], v[75:76], s[48:49]
	s_delay_alu instid0(VALU_DEP_3) | instskip(SKIP_1) | instid1(VALU_DEP_2)
	v_fma_f64 v[196:197], v[95:96], s[2:3], -v[68:69]
	v_fma_f64 v[68:69], v[95:96], s[2:3], v[68:69]
	v_add_f64 v[30:31], v[196:197], v[30:31]
	v_mul_f64 v[196:197], v[164:165], s[34:35]
	s_delay_alu instid0(VALU_DEP_3) | instskip(NEXT) | instid1(VALU_DEP_2)
	v_add_f64 v[34:35], v[68:69], v[34:35]
	v_fma_f64 v[198:199], v[97:98], s[2:3], v[196:197]
	v_fma_f64 v[68:69], v[97:98], s[2:3], -v[196:197]
	v_fma_f64 v[196:197], v[66:67], s[22:23], -v[222:223]
	s_delay_alu instid0(VALU_DEP_3) | instskip(SKIP_1) | instid1(VALU_DEP_4)
	v_add_f64 v[28:29], v[198:199], v[28:29]
	v_mul_f64 v[198:199], v[162:163], s[50:51]
	v_add_f64 v[32:33], v[68:69], v[32:33]
	s_delay_alu instid0(VALU_DEP_2) | instskip(SKIP_1) | instid1(VALU_DEP_2)
	v_fma_f64 v[200:201], v[91:92], s[16:17], -v[198:199]
	v_fma_f64 v[68:69], v[91:92], s[16:17], v[198:199]
	v_add_f64 v[30:31], v[200:201], v[30:31]
	v_mul_f64 v[200:201], v[160:161], s[50:51]
	s_delay_alu instid0(VALU_DEP_3) | instskip(NEXT) | instid1(VALU_DEP_2)
	v_add_f64 v[34:35], v[68:69], v[34:35]
	v_fma_f64 v[202:203], v[93:94], s[16:17], v[200:201]
	v_fma_f64 v[68:69], v[93:94], s[16:17], -v[200:201]
	s_delay_alu instid0(VALU_DEP_2) | instskip(SKIP_1) | instid1(VALU_DEP_3)
	v_add_f64 v[28:29], v[202:203], v[28:29]
	v_mul_f64 v[202:203], v[154:155], s[46:47]
	v_add_f64 v[32:33], v[68:69], v[32:33]
	s_delay_alu instid0(VALU_DEP_2) | instskip(SKIP_1) | instid1(VALU_DEP_2)
	v_fma_f64 v[204:205], v[87:88], s[24:25], -v[202:203]
	v_fma_f64 v[68:69], v[87:88], s[24:25], v[202:203]
	v_add_f64 v[30:31], v[204:205], v[30:31]
	v_mul_f64 v[204:205], v[152:153], s[46:47]
	s_delay_alu instid0(VALU_DEP_3) | instskip(NEXT) | instid1(VALU_DEP_2)
	v_add_f64 v[34:35], v[68:69], v[34:35]
	v_fma_f64 v[206:207], v[89:90], s[24:25], v[204:205]
	v_fma_f64 v[68:69], v[89:90], s[24:25], -v[204:205]
	s_delay_alu instid0(VALU_DEP_2) | instskip(SKIP_1) | instid1(VALU_DEP_3)
	;; [unrolled: 13-line block ×4, first 2 shown]
	v_add_f64 v[28:29], v[214:215], v[28:29]
	v_mul_f64 v[214:215], v[62:63], s[56:57]
	v_add_f64 v[32:33], v[68:69], v[32:33]
	s_delay_alu instid0(VALU_DEP_2) | instskip(SKIP_1) | instid1(VALU_DEP_2)
	v_fma_f64 v[216:217], v[71:72], s[14:15], -v[214:215]
	v_fma_f64 v[68:69], v[71:72], s[14:15], v[214:215]
	v_add_f64 v[30:31], v[216:217], v[30:31]
	v_mul_f64 v[216:217], v[60:61], s[56:57]
	s_delay_alu instid0(VALU_DEP_3) | instskip(NEXT) | instid1(VALU_DEP_2)
	v_add_f64 v[34:35], v[68:69], v[34:35]
	v_fma_f64 v[68:69], v[73:74], s[14:15], -v[216:217]
	v_fma_f64 v[218:219], v[73:74], s[14:15], v[216:217]
	s_delay_alu instid0(VALU_DEP_2) | instskip(SKIP_1) | instid1(VALU_DEP_3)
	v_add_f64 v[68:69], v[68:69], v[32:33]
	v_fma_f64 v[32:33], v[64:65], s[22:23], v[220:221]
	v_add_f64 v[218:219], v[218:219], v[28:29]
	v_fma_f64 v[28:29], v[64:65], s[22:23], -v[220:221]
	v_mul_f64 v[220:221], v[77:78], s[28:29]
	s_delay_alu instid0(VALU_DEP_4)
	v_add_f64 v[32:33], v[32:33], v[34:35]
	v_add_f64 v[34:35], v[196:197], v[68:69]
	v_mul_f64 v[68:69], v[166:167], s[52:53]
	v_add_f64 v[28:29], v[28:29], v[30:31]
	v_fma_f64 v[30:31], v[66:67], s[22:23], v[222:223]
	v_mul_f64 v[222:223], v[75:76], s[28:29]
	s_delay_alu instid0(VALU_DEP_4) | instskip(SKIP_1) | instid1(VALU_DEP_4)
	v_fma_f64 v[196:197], v[95:96], s[8:9], -v[68:69]
	v_fma_f64 v[68:69], v[95:96], s[8:9], v[68:69]
	v_add_f64 v[30:31], v[30:31], v[218:219]
	s_delay_alu instid0(VALU_DEP_3) | instskip(SKIP_1) | instid1(VALU_DEP_4)
	v_add_f64 v[42:43], v[196:197], v[42:43]
	v_mul_f64 v[196:197], v[164:165], s[52:53]
	v_add_f64 v[38:39], v[68:69], v[38:39]
	s_delay_alu instid0(VALU_DEP_2) | instskip(SKIP_2) | instid1(VALU_DEP_3)
	v_fma_f64 v[198:199], v[97:98], s[8:9], v[196:197]
	v_fma_f64 v[68:69], v[97:98], s[8:9], -v[196:197]
	v_fma_f64 v[196:197], v[66:67], s[14:15], -v[222:223]
	v_add_f64 v[40:41], v[198:199], v[40:41]
	v_mul_f64 v[198:199], v[162:163], s[48:49]
	s_delay_alu instid0(VALU_DEP_4) | instskip(NEXT) | instid1(VALU_DEP_2)
	v_add_f64 v[36:37], v[68:69], v[36:37]
	v_fma_f64 v[200:201], v[91:92], s[22:23], -v[198:199]
	v_fma_f64 v[68:69], v[91:92], s[22:23], v[198:199]
	s_delay_alu instid0(VALU_DEP_2) | instskip(SKIP_1) | instid1(VALU_DEP_3)
	v_add_f64 v[42:43], v[200:201], v[42:43]
	v_mul_f64 v[200:201], v[160:161], s[48:49]
	v_add_f64 v[38:39], v[68:69], v[38:39]
	s_delay_alu instid0(VALU_DEP_2) | instskip(SKIP_1) | instid1(VALU_DEP_2)
	v_fma_f64 v[202:203], v[93:94], s[22:23], v[200:201]
	v_fma_f64 v[68:69], v[93:94], s[22:23], -v[200:201]
	v_add_f64 v[40:41], v[202:203], v[40:41]
	v_mul_f64 v[202:203], v[154:155], s[42:43]
	s_delay_alu instid0(VALU_DEP_3) | instskip(NEXT) | instid1(VALU_DEP_2)
	v_add_f64 v[36:37], v[68:69], v[36:37]
	v_fma_f64 v[204:205], v[87:88], s[20:21], -v[202:203]
	v_fma_f64 v[68:69], v[87:88], s[20:21], v[202:203]
	s_delay_alu instid0(VALU_DEP_2) | instskip(SKIP_1) | instid1(VALU_DEP_3)
	v_add_f64 v[42:43], v[204:205], v[42:43]
	v_mul_f64 v[204:205], v[152:153], s[42:43]
	v_add_f64 v[38:39], v[68:69], v[38:39]
	s_delay_alu instid0(VALU_DEP_2) | instskip(SKIP_1) | instid1(VALU_DEP_2)
	v_fma_f64 v[206:207], v[89:90], s[20:21], v[204:205]
	v_fma_f64 v[68:69], v[89:90], s[20:21], -v[204:205]
	v_add_f64 v[40:41], v[206:207], v[40:41]
	v_mul_f64 v[206:207], v[138:139], s[34:35]
	s_delay_alu instid0(VALU_DEP_3) | instskip(NEXT) | instid1(VALU_DEP_2)
	;; [unrolled: 13-line block ×4, first 2 shown]
	v_add_f64 v[36:37], v[68:69], v[36:37]
	v_fma_f64 v[216:217], v[71:72], s[24:25], -v[214:215]
	v_fma_f64 v[68:69], v[71:72], s[24:25], v[214:215]
	s_delay_alu instid0(VALU_DEP_2) | instskip(SKIP_1) | instid1(VALU_DEP_3)
	v_add_f64 v[42:43], v[216:217], v[42:43]
	v_mul_f64 v[216:217], v[60:61], s[36:37]
	v_add_f64 v[38:39], v[68:69], v[38:39]
	s_delay_alu instid0(VALU_DEP_2) | instskip(SKIP_1) | instid1(VALU_DEP_2)
	v_fma_f64 v[68:69], v[73:74], s[24:25], -v[216:217]
	v_fma_f64 v[218:219], v[73:74], s[24:25], v[216:217]
	v_add_f64 v[68:69], v[68:69], v[36:37]
	v_fma_f64 v[36:37], v[64:65], s[14:15], v[220:221]
	s_delay_alu instid0(VALU_DEP_3) | instskip(SKIP_2) | instid1(VALU_DEP_4)
	v_add_f64 v[218:219], v[218:219], v[40:41]
	v_fma_f64 v[40:41], v[64:65], s[14:15], -v[220:221]
	v_mul_f64 v[220:221], v[77:78], s[44:45]
	v_add_f64 v[36:37], v[36:37], v[38:39]
	v_add_f64 v[38:39], v[196:197], v[68:69]
	v_mul_f64 v[68:69], v[166:167], s[50:51]
	v_add_f64 v[40:41], v[40:41], v[42:43]
	v_fma_f64 v[42:43], v[66:67], s[14:15], v[222:223]
	v_mul_f64 v[222:223], v[75:76], s[44:45]
	s_delay_alu instid0(VALU_DEP_4) | instskip(SKIP_1) | instid1(VALU_DEP_4)
	v_fma_f64 v[196:197], v[95:96], s[16:17], -v[68:69]
	v_fma_f64 v[68:69], v[95:96], s[16:17], v[68:69]
	v_add_f64 v[42:43], v[42:43], v[218:219]
	s_delay_alu instid0(VALU_DEP_3) | instskip(SKIP_1) | instid1(VALU_DEP_4)
	v_add_f64 v[46:47], v[196:197], v[46:47]
	v_mul_f64 v[196:197], v[164:165], s[50:51]
	v_add_f64 v[50:51], v[68:69], v[50:51]
	s_delay_alu instid0(VALU_DEP_2) | instskip(SKIP_2) | instid1(VALU_DEP_3)
	v_fma_f64 v[198:199], v[97:98], s[16:17], v[196:197]
	v_fma_f64 v[68:69], v[97:98], s[16:17], -v[196:197]
	v_fma_f64 v[196:197], v[66:67], s[20:21], -v[222:223]
	v_add_f64 v[44:45], v[198:199], v[44:45]
	v_mul_f64 v[198:199], v[162:163], s[36:37]
	s_delay_alu instid0(VALU_DEP_4) | instskip(NEXT) | instid1(VALU_DEP_2)
	v_add_f64 v[48:49], v[68:69], v[48:49]
	v_fma_f64 v[200:201], v[91:92], s[24:25], -v[198:199]
	v_fma_f64 v[68:69], v[91:92], s[24:25], v[198:199]
	s_delay_alu instid0(VALU_DEP_2) | instskip(SKIP_1) | instid1(VALU_DEP_3)
	v_add_f64 v[46:47], v[200:201], v[46:47]
	v_mul_f64 v[200:201], v[160:161], s[36:37]
	v_add_f64 v[50:51], v[68:69], v[50:51]
	s_delay_alu instid0(VALU_DEP_2) | instskip(SKIP_1) | instid1(VALU_DEP_2)
	v_fma_f64 v[202:203], v[93:94], s[24:25], v[200:201]
	v_fma_f64 v[68:69], v[93:94], s[24:25], -v[200:201]
	v_add_f64 v[44:45], v[202:203], v[44:45]
	v_mul_f64 v[202:203], v[154:155], s[30:31]
	s_delay_alu instid0(VALU_DEP_3) | instskip(NEXT) | instid1(VALU_DEP_2)
	v_add_f64 v[48:49], v[68:69], v[48:49]
	v_fma_f64 v[204:205], v[87:88], s[8:9], -v[202:203]
	v_fma_f64 v[68:69], v[87:88], s[8:9], v[202:203]
	s_delay_alu instid0(VALU_DEP_2) | instskip(SKIP_1) | instid1(VALU_DEP_3)
	v_add_f64 v[46:47], v[204:205], v[46:47]
	v_mul_f64 v[204:205], v[152:153], s[30:31]
	v_add_f64 v[50:51], v[68:69], v[50:51]
	s_delay_alu instid0(VALU_DEP_2) | instskip(SKIP_1) | instid1(VALU_DEP_2)
	v_fma_f64 v[206:207], v[89:90], s[8:9], v[204:205]
	v_fma_f64 v[68:69], v[89:90], s[8:9], -v[204:205]
	v_add_f64 v[44:45], v[206:207], v[44:45]
	v_mul_f64 v[206:207], v[138:139], s[54:55]
	s_delay_alu instid0(VALU_DEP_3) | instskip(NEXT) | instid1(VALU_DEP_2)
	v_add_f64 v[48:49], v[68:69], v[48:49]
	v_fma_f64 v[208:209], v[83:84], s[18:19], -v[206:207]
	v_fma_f64 v[68:69], v[83:84], s[18:19], v[206:207]
	s_delay_alu instid0(VALU_DEP_2) | instskip(SKIP_1) | instid1(VALU_DEP_3)
	v_add_f64 v[46:47], v[208:209], v[46:47]
	v_mul_f64 v[208:209], v[136:137], s[54:55]
	v_add_f64 v[50:51], v[68:69], v[50:51]
	s_delay_alu instid0(VALU_DEP_2) | instskip(SKIP_1) | instid1(VALU_DEP_2)
	v_fma_f64 v[210:211], v[85:86], s[18:19], v[208:209]
	v_fma_f64 v[68:69], v[85:86], s[18:19], -v[208:209]
	v_add_f64 v[44:45], v[210:211], v[44:45]
	v_mul_f64 v[210:211], v[106:107], s[40:41]
	s_delay_alu instid0(VALU_DEP_3) | instskip(NEXT) | instid1(VALU_DEP_2)
	v_add_f64 v[48:49], v[68:69], v[48:49]
	v_fma_f64 v[212:213], v[79:80], s[22:23], -v[210:211]
	v_fma_f64 v[68:69], v[79:80], s[22:23], v[210:211]
	s_delay_alu instid0(VALU_DEP_2) | instskip(SKIP_1) | instid1(VALU_DEP_3)
	v_add_f64 v[46:47], v[212:213], v[46:47]
	v_mul_f64 v[212:213], v[104:105], s[40:41]
	v_add_f64 v[50:51], v[68:69], v[50:51]
	s_delay_alu instid0(VALU_DEP_2) | instskip(SKIP_1) | instid1(VALU_DEP_2)
	v_fma_f64 v[214:215], v[81:82], s[22:23], v[212:213]
	v_fma_f64 v[68:69], v[81:82], s[22:23], -v[212:213]
	v_add_f64 v[44:45], v[214:215], v[44:45]
	v_mul_f64 v[214:215], v[62:63], s[34:35]
	s_delay_alu instid0(VALU_DEP_3) | instskip(NEXT) | instid1(VALU_DEP_2)
	v_add_f64 v[48:49], v[68:69], v[48:49]
	v_fma_f64 v[216:217], v[71:72], s[2:3], -v[214:215]
	v_fma_f64 v[68:69], v[71:72], s[2:3], v[214:215]
	s_delay_alu instid0(VALU_DEP_2) | instskip(SKIP_1) | instid1(VALU_DEP_3)
	v_add_f64 v[46:47], v[216:217], v[46:47]
	v_mul_f64 v[216:217], v[60:61], s[34:35]
	v_add_f64 v[50:51], v[68:69], v[50:51]
	s_delay_alu instid0(VALU_DEP_2) | instskip(SKIP_1) | instid1(VALU_DEP_2)
	v_fma_f64 v[68:69], v[73:74], s[2:3], -v[216:217]
	v_fma_f64 v[218:219], v[73:74], s[2:3], v[216:217]
	v_add_f64 v[68:69], v[68:69], v[48:49]
	v_fma_f64 v[48:49], v[64:65], s[20:21], v[220:221]
	s_delay_alu instid0(VALU_DEP_3)
	v_add_f64 v[218:219], v[218:219], v[44:45]
	v_fma_f64 v[44:45], v[64:65], s[20:21], -v[220:221]
	v_mul_f64 v[220:221], v[77:78], s[26:27]
	v_mul_f64 v[77:78], v[77:78], s[54:55]
	v_add_f64 v[48:49], v[48:49], v[50:51]
	v_add_f64 v[50:51], v[196:197], v[68:69]
	v_mul_f64 v[68:69], v[166:167], s[44:45]
	v_add_f64 v[44:45], v[44:45], v[46:47]
	v_fma_f64 v[46:47], v[66:67], s[20:21], v[222:223]
	v_mul_f64 v[222:223], v[75:76], s[26:27]
	v_mul_f64 v[75:76], v[75:76], s[54:55]
	v_fma_f64 v[196:197], v[95:96], s[20:21], -v[68:69]
	v_fma_f64 v[68:69], v[95:96], s[20:21], v[68:69]
	v_add_f64 v[46:47], v[46:47], v[218:219]
	s_delay_alu instid0(VALU_DEP_3) | instskip(SKIP_1) | instid1(VALU_DEP_4)
	v_add_f64 v[54:55], v[196:197], v[54:55]
	v_mul_f64 v[196:197], v[164:165], s[44:45]
	v_add_f64 v[58:59], v[68:69], v[58:59]
	v_mul_f64 v[164:165], v[164:165], s[46:47]
	s_delay_alu instid0(VALU_DEP_3) | instskip(SKIP_2) | instid1(VALU_DEP_3)
	v_fma_f64 v[198:199], v[97:98], s[20:21], v[196:197]
	v_fma_f64 v[68:69], v[97:98], s[20:21], -v[196:197]
	v_fma_f64 v[196:197], v[66:67], s[16:17], -v[222:223]
	v_add_f64 v[52:53], v[198:199], v[52:53]
	v_mul_f64 v[198:199], v[162:163], s[38:39]
	s_delay_alu instid0(VALU_DEP_4) | instskip(SKIP_1) | instid1(VALU_DEP_3)
	v_add_f64 v[56:57], v[68:69], v[56:57]
	v_mul_f64 v[162:163], v[162:163], s[30:31]
	v_fma_f64 v[200:201], v[91:92], s[18:19], -v[198:199]
	v_fma_f64 v[68:69], v[91:92], s[18:19], v[198:199]
	v_add_f64 v[198:199], v[114:115], v[118:119]
	s_delay_alu instid0(VALU_DEP_3) | instskip(SKIP_1) | instid1(VALU_DEP_4)
	v_add_f64 v[54:55], v[200:201], v[54:55]
	v_mul_f64 v[200:201], v[160:161], s[38:39]
	v_add_f64 v[58:59], v[68:69], v[58:59]
	v_mul_f64 v[160:161], v[160:161], s[30:31]
	s_delay_alu instid0(VALU_DEP_3) | instskip(SKIP_2) | instid1(VALU_DEP_3)
	v_fma_f64 v[202:203], v[93:94], s[18:19], v[200:201]
	v_fma_f64 v[68:69], v[93:94], s[18:19], -v[200:201]
	v_mul_f64 v[200:201], v[248:249], s[36:37]
	v_add_f64 v[52:53], v[202:203], v[52:53]
	v_mul_f64 v[202:203], v[154:155], s[56:57]
	s_delay_alu instid0(VALU_DEP_4) | instskip(SKIP_1) | instid1(VALU_DEP_3)
	v_add_f64 v[56:57], v[68:69], v[56:57]
	v_mul_f64 v[154:155], v[154:155], s[48:49]
	v_fma_f64 v[204:205], v[87:88], s[14:15], -v[202:203]
	v_fma_f64 v[68:69], v[87:88], s[14:15], v[202:203]
	v_add_f64 v[202:203], v[144:145], v[132:133]
	s_delay_alu instid0(VALU_DEP_3) | instskip(SKIP_1) | instid1(VALU_DEP_4)
	v_add_f64 v[54:55], v[204:205], v[54:55]
	v_mul_f64 v[204:205], v[152:153], s[56:57]
	v_add_f64 v[58:59], v[68:69], v[58:59]
	v_mul_f64 v[152:153], v[152:153], s[48:49]
	s_delay_alu instid0(VALU_DEP_3) | instskip(SKIP_1) | instid1(VALU_DEP_2)
	v_fma_f64 v[206:207], v[89:90], s[14:15], v[204:205]
	v_fma_f64 v[68:69], v[89:90], s[14:15], -v[204:205]
	v_add_f64 v[52:53], v[206:207], v[52:53]
	v_mul_f64 v[206:207], v[138:139], s[36:37]
	s_delay_alu instid0(VALU_DEP_3) | instskip(SKIP_1) | instid1(VALU_DEP_3)
	v_add_f64 v[56:57], v[68:69], v[56:57]
	v_mul_f64 v[138:139], v[138:139], s[28:29]
	v_fma_f64 v[208:209], v[83:84], s[24:25], -v[206:207]
	v_fma_f64 v[68:69], v[83:84], s[24:25], v[206:207]
	v_add_f64 v[206:207], v[126:127], v[122:123]
	s_delay_alu instid0(VALU_DEP_3) | instskip(SKIP_1) | instid1(VALU_DEP_4)
	v_add_f64 v[54:55], v[208:209], v[54:55]
	v_mul_f64 v[208:209], v[136:137], s[36:37]
	v_add_f64 v[58:59], v[68:69], v[58:59]
	v_mul_f64 v[136:137], v[136:137], s[28:29]
	s_delay_alu instid0(VALU_DEP_3) | instskip(SKIP_2) | instid1(VALU_DEP_3)
	v_fma_f64 v[210:211], v[85:86], s[24:25], v[208:209]
	v_fma_f64 v[68:69], v[85:86], s[24:25], -v[208:209]
	v_add_f64 v[208:209], v[110:111], -v[130:131]
	v_add_f64 v[52:53], v[210:211], v[52:53]
	v_mul_f64 v[210:211], v[106:107], s[34:35]
	s_delay_alu instid0(VALU_DEP_4) | instskip(SKIP_2) | instid1(VALU_DEP_4)
	v_add_f64 v[56:57], v[68:69], v[56:57]
	v_mul_f64 v[106:107], v[106:107], s[44:45]
	v_mul_f64 v[4:5], v[208:209], s[36:37]
	v_fma_f64 v[212:213], v[79:80], s[2:3], -v[210:211]
	v_fma_f64 v[68:69], v[79:80], s[2:3], v[210:211]
	v_add_f64 v[210:211], v[156:157], v[140:141]
	scratch_store_b64 off, v[4:5], off offset:752 ; 8-byte Folded Spill
	v_add_f64 v[54:55], v[212:213], v[54:55]
	v_mul_f64 v[212:213], v[104:105], s[34:35]
	v_add_f64 v[58:59], v[68:69], v[58:59]
	v_mul_f64 v[104:105], v[104:105], s[44:45]
	s_delay_alu instid0(VALU_DEP_3) | instskip(SKIP_2) | instid1(VALU_DEP_3)
	v_fma_f64 v[214:215], v[81:82], s[2:3], v[212:213]
	v_fma_f64 v[68:69], v[81:82], s[2:3], -v[212:213]
	v_add_f64 v[212:213], v[114:115], -v[118:119]
	v_add_f64 v[52:53], v[214:215], v[52:53]
	v_mul_f64 v[214:215], v[62:63], s[48:49]
	s_delay_alu instid0(VALU_DEP_4) | instskip(NEXT) | instid1(VALU_DEP_2)
	v_add_f64 v[56:57], v[68:69], v[56:57]
	v_fma_f64 v[216:217], v[71:72], s[22:23], -v[214:215]
	v_fma_f64 v[68:69], v[71:72], s[22:23], v[214:215]
	v_add_f64 v[214:215], v[146:147], v[134:135]
	s_delay_alu instid0(VALU_DEP_3) | instskip(SKIP_1) | instid1(VALU_DEP_4)
	v_add_f64 v[54:55], v[216:217], v[54:55]
	v_mul_f64 v[216:217], v[60:61], s[48:49]
	v_add_f64 v[58:59], v[68:69], v[58:59]
	s_delay_alu instid0(VALU_DEP_2) | instskip(SKIP_2) | instid1(VALU_DEP_3)
	v_fma_f64 v[68:69], v[73:74], s[22:23], -v[216:217]
	v_fma_f64 v[218:219], v[73:74], s[22:23], v[216:217]
	v_add_f64 v[216:217], v[108:109], -v[128:129]
	v_add_f64 v[68:69], v[68:69], v[56:57]
	v_fma_f64 v[56:57], v[64:65], s[16:17], v[220:221]
	s_delay_alu instid0(VALU_DEP_4)
	v_add_f64 v[218:219], v[218:219], v[52:53]
	v_fma_f64 v[52:53], v[64:65], s[16:17], -v[220:221]
	v_add_f64 v[220:221], v[112:113], -v[116:117]
	v_mul_f64 v[204:205], v[216:217], s[42:43]
	v_add_f64 v[56:57], v[56:57], v[58:59]
	v_add_f64 v[58:59], v[196:197], v[68:69]
	v_mul_f64 v[68:69], v[166:167], s[46:47]
	v_add_f64 v[52:53], v[52:53], v[54:55]
	v_fma_f64 v[54:55], v[66:67], s[16:17], v[222:223]
	v_add_f64 v[222:223], v[184:185], v[168:169]
	v_mul_f64 v[196:197], v[208:209], s[42:43]
	v_fma_f64 v[166:167], v[95:96], s[24:25], -v[68:69]
	v_fma_f64 v[68:69], v[95:96], s[24:25], v[68:69]
	v_fma_f64 v[95:96], v[97:98], s[24:25], -v[164:165]
	v_add_f64 v[54:55], v[54:55], v[218:219]
	v_add_f64 v[218:219], v[176:177], v[148:149]
	;; [unrolled: 1-line block ×3, first 2 shown]
	v_fma_f64 v[194:195], v[97:98], s[24:25], v[164:165]
	v_add_f64 v[68:69], v[68:69], v[188:189]
	v_add_f64 v[95:96], v[95:96], v[190:191]
	;; [unrolled: 1-line block ×3, first 2 shown]
	v_mul_f64 v[164:165], v[228:229], s[58:59]
	v_mul_f64 v[188:189], v[244:245], s[48:49]
	v_add_f64 v[192:193], v[194:195], v[192:193]
	v_fma_f64 v[194:195], v[91:92], s[8:9], -v[162:163]
	v_fma_f64 v[91:92], v[91:92], s[8:9], v[162:163]
	s_delay_alu instid0(VALU_DEP_2) | instskip(SKIP_2) | instid1(VALU_DEP_4)
	v_add_f64 v[166:167], v[194:195], v[166:167]
	v_fma_f64 v[194:195], v[93:94], s[8:9], v[160:161]
	v_fma_f64 v[93:94], v[93:94], s[8:9], -v[160:161]
	v_add_f64 v[68:69], v[91:92], v[68:69]
	s_delay_alu instid0(VALU_DEP_3) | instskip(SKIP_4) | instid1(VALU_DEP_4)
	v_add_f64 v[192:193], v[194:195], v[192:193]
	v_fma_f64 v[194:195], v[87:88], s[22:23], -v[154:155]
	v_fma_f64 v[87:88], v[87:88], s[22:23], v[154:155]
	v_add_f64 v[91:92], v[93:94], v[95:96]
	v_mul_f64 v[154:155], v[240:241], s[48:49]
	v_add_f64 v[166:167], v[194:195], v[166:167]
	v_fma_f64 v[194:195], v[89:90], s[22:23], v[152:153]
	v_fma_f64 v[89:90], v[89:90], s[22:23], -v[152:153]
	v_add_f64 v[68:69], v[87:88], v[68:69]
	s_delay_alu instid0(VALU_DEP_3) | instskip(SKIP_3) | instid1(VALU_DEP_3)
	v_add_f64 v[192:193], v[194:195], v[192:193]
	v_fma_f64 v[194:195], v[83:84], s[14:15], -v[138:139]
	v_fma_f64 v[83:84], v[83:84], s[14:15], v[138:139]
	v_add_f64 v[87:88], v[89:90], v[91:92]
	v_add_f64 v[166:167], v[194:195], v[166:167]
	v_fma_f64 v[194:195], v[85:86], s[14:15], v[136:137]
	v_fma_f64 v[85:86], v[85:86], s[14:15], -v[136:137]
	v_add_f64 v[68:69], v[83:84], v[68:69]
	s_delay_alu instid0(VALU_DEP_3) | instskip(SKIP_3) | instid1(VALU_DEP_3)
	v_add_f64 v[192:193], v[194:195], v[192:193]
	v_fma_f64 v[194:195], v[79:80], s[20:21], -v[106:107]
	v_fma_f64 v[79:80], v[79:80], s[20:21], v[106:107]
	v_add_f64 v[83:84], v[85:86], v[87:88]
	v_add_f64 v[166:167], v[194:195], v[166:167]
	v_fma_f64 v[194:195], v[81:82], s[20:21], v[104:105]
	v_fma_f64 v[81:82], v[81:82], s[20:21], -v[104:105]
	v_add_f64 v[68:69], v[79:80], v[68:69]
	s_delay_alu instid0(VALU_DEP_3) | instskip(SKIP_1) | instid1(VALU_DEP_4)
	v_add_f64 v[192:193], v[194:195], v[192:193]
	v_mul_f64 v[194:195], v[62:63], s[26:27]
	v_add_f64 v[79:80], v[81:82], v[83:84]
	v_mul_f64 v[83:84], v[220:221], s[34:35]
	s_delay_alu instid0(VALU_DEP_3) | instskip(SKIP_2) | instid1(VALU_DEP_4)
	v_fma_f64 v[62:63], v[71:72], s[16:17], -v[194:195]
	v_fma_f64 v[71:72], v[71:72], s[16:17], v[194:195]
	v_add_f64 v[194:195], v[124:125], v[120:121]
	v_fma_f64 v[85:86], v[198:199], s[2:3], v[83:84]
	s_delay_alu instid0(VALU_DEP_4) | instskip(SKIP_2) | instid1(VALU_DEP_2)
	v_add_f64 v[62:63], v[62:63], v[166:167]
	v_mul_f64 v[166:167], v[60:61], s[26:27]
	v_add_f64 v[68:69], v[71:72], v[68:69]
	v_fma_f64 v[60:61], v[73:74], s[16:17], v[166:167]
	v_fma_f64 v[73:74], v[73:74], s[16:17], -v[166:167]
	v_mul_f64 v[166:167], v[236:237], s[50:51]
	s_delay_alu instid0(VALU_DEP_3) | instskip(SKIP_3) | instid1(VALU_DEP_3)
	v_add_f64 v[192:193], v[60:61], v[192:193]
	v_fma_f64 v[60:61], v[64:65], s[18:19], -v[77:78]
	v_fma_f64 v[64:65], v[64:65], s[18:19], v[77:78]
	v_add_f64 v[71:72], v[73:74], v[79:80]
	v_add_f64 v[60:61], v[60:61], v[62:63]
	v_fma_f64 v[62:63], v[66:67], s[18:19], v[75:76]
	v_fma_f64 v[66:67], v[66:67], s[18:19], -v[75:76]
	v_add_f64 v[64:65], v[64:65], v[68:69]
	v_fma_f64 v[68:69], v[246:247], s[24:25], v[4:5]
	v_mul_f64 v[4:5], v[212:213], s[40:41]
	v_add_f64 v[62:63], v[62:63], v[192:193]
	v_add_f64 v[66:67], v[66:67], v[71:72]
	s_delay_alu instid0(VALU_DEP_4) | instskip(SKIP_3) | instid1(VALU_DEP_2)
	v_add_f64 v[68:69], v[100:101], v[68:69]
	scratch_store_b64 off, v[4:5], off offset:524 ; 8-byte Folded Spill
	v_fma_f64 v[71:72], v[190:191], s[22:23], v[4:5]
	v_mul_f64 v[4:5], v[216:217], s[36:37]
	v_add_f64 v[68:69], v[71:72], v[68:69]
	scratch_store_b64 off, v[4:5], off offset:768 ; 8-byte Folded Spill
	v_fma_f64 v[71:72], v[250:251], s[24:25], -v[4:5]
	v_mul_f64 v[4:5], v[220:221], s[40:41]
	s_delay_alu instid0(VALU_DEP_2) | instskip(SKIP_3) | instid1(VALU_DEP_2)
	v_add_f64 v[71:72], v[102:103], v[71:72]
	scratch_store_b64 off, v[4:5], off offset:556 ; 8-byte Folded Spill
	v_fma_f64 v[73:74], v[198:199], s[22:23], -v[4:5]
	v_mul_f64 v[4:5], v[224:225], s[42:43]
	v_add_f64 v[71:72], v[73:74], v[71:72]
	scratch_store_b64 off, v[4:5], off offset:540 ; 8-byte Folded Spill
	v_fma_f64 v[73:74], v[194:195], s[20:21], v[4:5]
	v_mul_f64 v[4:5], v[228:229], s[42:43]
	s_delay_alu instid0(VALU_DEP_2) | instskip(SKIP_3) | instid1(VALU_DEP_2)
	v_add_f64 v[68:69], v[73:74], v[68:69]
	scratch_store_b64 off, v[4:5], off offset:588 ; 8-byte Folded Spill
	v_fma_f64 v[73:74], v[206:207], s[20:21], -v[4:5]
	v_mul_f64 v[4:5], v[232:233], s[38:39]
	v_add_f64 v[71:72], v[73:74], v[71:72]
	scratch_store_b64 off, v[4:5], off offset:572 ; 8-byte Folded Spill
	v_fma_f64 v[73:74], v[202:203], s[18:19], v[4:5]
	;; [unrolled: 9-line block ×3, first 2 shown]
	v_mul_f64 v[4:5], v[244:245], s[26:27]
	s_delay_alu instid0(VALU_DEP_2) | instskip(SKIP_3) | instid1(VALU_DEP_2)
	v_add_f64 v[68:69], v[73:74], v[68:69]
	scratch_store_b64 off, v[4:5], off offset:672 ; 8-byte Folded Spill
	v_fma_f64 v[6:7], v[226:227], s[16:17], -v[4:5]
	v_add_f64 v[4:5], v[178:179], -v[150:151]
	v_add_f64 v[6:7], v[6:7], v[71:72]
	s_delay_alu instid0(VALU_DEP_2) | instskip(SKIP_2) | instid1(VALU_DEP_1)
	v_mul_f64 v[71:72], v[4:5], s[28:29]
	scratch_store_b64 off, v[71:72], off offset:636 ; 8-byte Folded Spill
	v_fma_f64 v[71:72], v[218:219], s[14:15], v[71:72]
	v_add_f64 v[68:69], v[71:72], v[68:69]
	v_mul_f64 v[71:72], v[248:249], s[28:29]
	scratch_store_b64 off, v[71:72], off offset:704 ; 8-byte Folded Spill
	v_fma_f64 v[71:72], v[234:235], s[14:15], -v[71:72]
	s_delay_alu instid0(VALU_DEP_1) | instskip(SKIP_3) | instid1(VALU_DEP_1)
	v_add_f64 v[6:7], v[71:72], v[6:7]
	v_mul_f64 v[71:72], v[252:253], s[30:31]
	scratch_store_b64 off, v[71:72], off offset:652 ; 8-byte Folded Spill
	v_fma_f64 v[71:72], v[222:223], s[8:9], v[71:72]
	v_add_f64 v[68:69], v[71:72], v[68:69]
	v_add_f64 v[71:72], v[184:185], -v[168:169]
	s_delay_alu instid0(VALU_DEP_1) | instskip(SKIP_3) | instid1(VALU_DEP_1)
	v_mul_f64 v[73:74], v[71:72], s[30:31]
	v_mul_f64 v[192:193], v[71:72], s[38:39]
	scratch_store_b64 off, v[73:74], off offset:720 ; 8-byte Folded Spill
	v_fma_f64 v[73:74], v[238:239], s[8:9], -v[73:74]
	v_add_f64 v[6:7], v[73:74], v[6:7]
	v_mul_f64 v[73:74], v[254:255], s[34:35]
	scratch_store_b64 off, v[73:74], off offset:688 ; 8-byte Folded Spill
	v_fma_f64 v[73:74], v[230:231], s[2:3], v[73:74]
	s_delay_alu instid0(VALU_DEP_1) | instskip(SKIP_1) | instid1(VALU_DEP_1)
	v_add_f64 v[75:76], v[73:74], v[68:69]
	v_add_f64 v[73:74], v[180:181], -v[172:173]
	v_mul_f64 v[68:69], v[73:74], s[34:35]
	scratch_store_b64 off, v[68:69], off offset:736 ; 8-byte Folded Spill
	v_fma_f64 v[68:69], v[242:243], s[2:3], -v[68:69]
	s_delay_alu instid0(VALU_DEP_1)
	v_add_f64 v[77:78], v[68:69], v[6:7]
	v_mul_f64 v[6:7], v[208:209], s[40:41]
	v_mul_f64 v[68:69], v[212:213], s[38:39]
	scratch_store_b128 off, v[75:78], off offset:4 ; 16-byte Folded Spill
	v_mul_f64 v[75:76], v[220:221], s[38:39]
	s_clause 0x1
	scratch_store_b64 off, v[68:69], off offset:784
	scratch_store_b64 off, v[6:7], off offset:944
	v_fma_f64 v[6:7], v[246:247], s[22:23], v[6:7]
	v_fma_f64 v[68:69], v[190:191], s[18:19], v[68:69]
	scratch_store_b64 off, v[75:76], off offset:864 ; 8-byte Folded Spill
	v_fma_f64 v[75:76], v[198:199], s[18:19], -v[75:76]
	v_add_f64 v[6:7], v[100:101], v[6:7]
	s_delay_alu instid0(VALU_DEP_1) | instskip(SKIP_3) | instid1(VALU_DEP_1)
	v_add_f64 v[6:7], v[68:69], v[6:7]
	v_mul_f64 v[68:69], v[216:217], s[40:41]
	scratch_store_b64 off, v[68:69], off offset:952 ; 8-byte Folded Spill
	v_fma_f64 v[68:69], v[250:251], s[22:23], -v[68:69]
	v_add_f64 v[68:69], v[102:103], v[68:69]
	s_delay_alu instid0(VALU_DEP_1) | instskip(SKIP_3) | instid1(VALU_DEP_1)
	v_add_f64 v[68:69], v[75:76], v[68:69]
	v_mul_f64 v[75:76], v[224:225], s[28:29]
	scratch_store_b64 off, v[75:76], off offset:800 ; 8-byte Folded Spill
	v_fma_f64 v[75:76], v[194:195], s[14:15], v[75:76]
	v_add_f64 v[6:7], v[75:76], v[6:7]
	v_mul_f64 v[75:76], v[228:229], s[28:29]
	scratch_store_b64 off, v[75:76], off offset:896 ; 8-byte Folded Spill
	v_fma_f64 v[75:76], v[206:207], s[14:15], -v[75:76]
	s_delay_alu instid0(VALU_DEP_1) | instskip(SKIP_3) | instid1(VALU_DEP_1)
	v_add_f64 v[68:69], v[75:76], v[68:69]
	v_mul_f64 v[75:76], v[232:233], s[34:35]
	scratch_store_b64 off, v[75:76], off offset:816 ; 8-byte Folded Spill
	v_fma_f64 v[75:76], v[202:203], s[2:3], v[75:76]
	v_add_f64 v[6:7], v[75:76], v[6:7]
	v_mul_f64 v[75:76], v[236:237], s[34:35]
	scratch_store_b64 off, v[75:76], off offset:904 ; 8-byte Folded Spill
	v_fma_f64 v[75:76], v[214:215], s[2:3], -v[75:76]
	;; [unrolled: 9-line block ×4, first 2 shown]
	s_delay_alu instid0(VALU_DEP_1) | instskip(SKIP_4) | instid1(VALU_DEP_2)
	v_add_f64 v[68:69], v[75:76], v[68:69]
	v_mul_f64 v[75:76], v[252:253], s[44:45]
	scratch_store_b64 off, v[75:76], off offset:840 ; 8-byte Folded Spill
	v_fma_f64 v[87:88], v[222:223], s[20:21], v[75:76]
	v_mul_f64 v[75:76], v[71:72], s[44:45]
	v_add_f64 v[6:7], v[87:88], v[6:7]
	scratch_store_b64 off, v[75:76], off offset:928 ; 8-byte Folded Spill
	v_fma_f64 v[87:88], v[238:239], s[20:21], -v[75:76]
	v_mul_f64 v[75:76], v[254:255], s[46:47]
	s_delay_alu instid0(VALU_DEP_2) | instskip(NEXT) | instid1(VALU_DEP_2)
	v_add_f64 v[68:69], v[87:88], v[68:69]
	v_fma_f64 v[87:88], v[230:231], s[24:25], v[75:76]
	scratch_store_b64 off, v[75:76], off offset:808 ; 8-byte Folded Spill
	v_add_f64 v[75:76], v[87:88], v[6:7]
	v_mul_f64 v[6:7], v[73:74], s[46:47]
	scratch_store_b64 off, v[6:7], off offset:912 ; 8-byte Folded Spill
	v_fma_f64 v[6:7], v[242:243], s[24:25], -v[6:7]
	s_delay_alu instid0(VALU_DEP_1)
	v_add_f64 v[77:78], v[6:7], v[68:69]
	v_fma_f64 v[6:7], v[246:247], s[20:21], v[196:197]
	v_mul_f64 v[68:69], v[212:213], s[28:29]
	scratch_store_b128 off, v[75:78], off offset:20 ; 16-byte Folded Spill
	v_add_f64 v[6:7], v[100:101], v[6:7]
	scratch_store_b64 off, v[68:69], off offset:960 ; 8-byte Folded Spill
	v_fma_f64 v[68:69], v[190:191], s[14:15], v[68:69]
	v_mul_f64 v[75:76], v[220:221], s[28:29]
	s_delay_alu instid0(VALU_DEP_2)
	v_add_f64 v[6:7], v[68:69], v[6:7]
	v_fma_f64 v[68:69], v[250:251], s[20:21], -v[204:205]
	scratch_store_b64 off, v[75:76], off offset:1000 ; 8-byte Folded Spill
	v_fma_f64 v[106:107], v[198:199], s[14:15], -v[75:76]
	v_mul_f64 v[75:76], v[224:225], s[58:59]
	v_add_f64 v[68:69], v[102:103], v[68:69]
	s_delay_alu instid0(VALU_DEP_2)
	v_fma_f64 v[136:137], v[194:195], s[2:3], v[75:76]
	scratch_store_b64 off, v[75:76], off offset:968 ; 8-byte Folded Spill
	v_mul_f64 v[75:76], v[232:233], s[50:51]
	v_add_f64 v[68:69], v[106:107], v[68:69]
	v_add_f64 v[6:7], v[136:137], v[6:7]
	v_fma_f64 v[136:137], v[206:207], s[2:3], -v[164:165]
	scratch_store_b64 off, v[75:76], off offset:984 ; 8-byte Folded Spill
	v_add_f64 v[68:69], v[136:137], v[68:69]
	v_fma_f64 v[136:137], v[202:203], s[16:17], v[75:76]
	v_mul_f64 v[75:76], v[4:5], s[36:37]
	s_delay_alu instid0(VALU_DEP_2) | instskip(SKIP_4) | instid1(VALU_DEP_1)
	v_add_f64 v[6:7], v[136:137], v[6:7]
	v_fma_f64 v[136:137], v[214:215], s[16:17], -v[166:167]
	scratch_store_b64 off, v[75:76], off offset:1008 ; 8-byte Folded Spill
	v_add_f64 v[68:69], v[136:137], v[68:69]
	v_fma_f64 v[136:137], v[210:211], s[22:23], v[154:155]
	v_add_f64 v[6:7], v[136:137], v[6:7]
	v_fma_f64 v[136:137], v[226:227], s[22:23], -v[188:189]
	s_delay_alu instid0(VALU_DEP_1) | instskip(SKIP_2) | instid1(VALU_DEP_2)
	v_add_f64 v[68:69], v[136:137], v[68:69]
	v_fma_f64 v[136:137], v[218:219], s[24:25], v[75:76]
	v_mul_f64 v[75:76], v[252:253], s[38:39]
	v_add_f64 v[6:7], v[136:137], v[6:7]
	v_fma_f64 v[136:137], v[234:235], s[24:25], -v[200:201]
	scratch_store_b64 off, v[75:76], off offset:992 ; 8-byte Folded Spill
	v_add_f64 v[68:69], v[136:137], v[68:69]
	v_fma_f64 v[136:137], v[222:223], s[18:19], v[75:76]
	s_delay_alu instid0(VALU_DEP_1) | instskip(SKIP_1) | instid1(VALU_DEP_1)
	v_add_f64 v[6:7], v[136:137], v[6:7]
	v_fma_f64 v[136:137], v[238:239], s[18:19], -v[192:193]
	v_add_f64 v[75:76], v[136:137], v[68:69]
	v_mul_f64 v[68:69], v[254:255], s[30:31]
	scratch_store_b64 off, v[68:69], off offset:976 ; 8-byte Folded Spill
	v_fma_f64 v[68:69], v[230:231], s[8:9], v[68:69]
	s_delay_alu instid0(VALU_DEP_1) | instskip(SKIP_1) | instid1(VALU_DEP_1)
	v_add_f64 v[77:78], v[68:69], v[6:7]
	v_mul_f64 v[68:69], v[73:74], s[30:31]
	v_fma_f64 v[6:7], v[242:243], s[8:9], -v[68:69]
	s_delay_alu instid0(VALU_DEP_1)
	v_add_f64 v[79:80], v[6:7], v[75:76]
	v_mul_f64 v[6:7], v[208:209], s[38:39]
	scratch_store_b128 off, v[77:80], off offset:36 ; 16-byte Folded Spill
	v_fma_f64 v[75:76], v[246:247], s[18:19], -v[6:7]
	v_mul_f64 v[77:78], v[212:213], s[34:35]
	v_fma_f64 v[6:7], v[246:247], s[18:19], v[6:7]
	s_delay_alu instid0(VALU_DEP_3) | instskip(NEXT) | instid1(VALU_DEP_3)
	v_add_f64 v[75:76], v[100:101], v[75:76]
	v_fma_f64 v[79:80], v[190:191], s[2:3], -v[77:78]
	s_delay_alu instid0(VALU_DEP_3) | instskip(SKIP_1) | instid1(VALU_DEP_3)
	v_add_f64 v[6:7], v[100:101], v[6:7]
	v_fma_f64 v[77:78], v[190:191], s[2:3], v[77:78]
	v_add_f64 v[75:76], v[79:80], v[75:76]
	v_mul_f64 v[79:80], v[216:217], s[38:39]
	s_delay_alu instid0(VALU_DEP_3) | instskip(NEXT) | instid1(VALU_DEP_2)
	v_add_f64 v[6:7], v[77:78], v[6:7]
	v_fma_f64 v[81:82], v[250:251], s[18:19], v[79:80]
	v_fma_f64 v[77:78], v[250:251], s[18:19], -v[79:80]
	v_fma_f64 v[79:80], v[198:199], s[2:3], -v[83:84]
	v_mul_f64 v[83:84], v[220:221], s[52:53]
	s_delay_alu instid0(VALU_DEP_4) | instskip(NEXT) | instid1(VALU_DEP_4)
	v_add_f64 v[81:82], v[102:103], v[81:82]
	v_add_f64 v[77:78], v[102:103], v[77:78]
	s_delay_alu instid0(VALU_DEP_2) | instskip(SKIP_1) | instid1(VALU_DEP_3)
	v_add_f64 v[81:82], v[85:86], v[81:82]
	v_mul_f64 v[85:86], v[224:225], s[50:51]
	v_add_f64 v[77:78], v[79:80], v[77:78]
	s_delay_alu instid0(VALU_DEP_2) | instskip(SKIP_2) | instid1(VALU_DEP_3)
	v_fma_f64 v[87:88], v[194:195], s[16:17], -v[85:86]
	v_fma_f64 v[79:80], v[194:195], s[16:17], v[85:86]
	v_fma_f64 v[85:86], v[198:199], s[8:9], v[83:84]
	v_add_f64 v[75:76], v[87:88], v[75:76]
	v_mul_f64 v[87:88], v[228:229], s[50:51]
	s_delay_alu instid0(VALU_DEP_4) | instskip(NEXT) | instid1(VALU_DEP_2)
	v_add_f64 v[6:7], v[79:80], v[6:7]
	v_fma_f64 v[89:90], v[206:207], s[16:17], v[87:88]
	v_fma_f64 v[79:80], v[206:207], s[16:17], -v[87:88]
	s_delay_alu instid0(VALU_DEP_2) | instskip(SKIP_1) | instid1(VALU_DEP_3)
	v_add_f64 v[81:82], v[89:90], v[81:82]
	v_mul_f64 v[89:90], v[232:233], s[46:47]
	v_add_f64 v[77:78], v[79:80], v[77:78]
	s_delay_alu instid0(VALU_DEP_2) | instskip(SKIP_1) | instid1(VALU_DEP_2)
	v_fma_f64 v[91:92], v[202:203], s[24:25], -v[89:90]
	v_fma_f64 v[79:80], v[202:203], s[24:25], v[89:90]
	v_add_f64 v[75:76], v[91:92], v[75:76]
	v_mul_f64 v[91:92], v[236:237], s[46:47]
	s_delay_alu instid0(VALU_DEP_3) | instskip(NEXT) | instid1(VALU_DEP_2)
	v_add_f64 v[6:7], v[79:80], v[6:7]
	v_fma_f64 v[93:94], v[214:215], s[24:25], v[91:92]
	v_fma_f64 v[79:80], v[214:215], s[24:25], -v[91:92]
	s_delay_alu instid0(VALU_DEP_2) | instskip(SKIP_1) | instid1(VALU_DEP_3)
	v_add_f64 v[81:82], v[93:94], v[81:82]
	v_mul_f64 v[93:94], v[240:241], s[42:43]
	v_add_f64 v[77:78], v[79:80], v[77:78]
	s_delay_alu instid0(VALU_DEP_2) | instskip(SKIP_1) | instid1(VALU_DEP_2)
	v_fma_f64 v[95:96], v[210:211], s[20:21], -v[93:94]
	v_fma_f64 v[79:80], v[210:211], s[20:21], v[93:94]
	v_add_f64 v[75:76], v[95:96], v[75:76]
	v_mul_f64 v[95:96], v[244:245], s[42:43]
	s_delay_alu instid0(VALU_DEP_3) | instskip(NEXT) | instid1(VALU_DEP_2)
	;; [unrolled: 13-line block ×4, first 2 shown]
	v_add_f64 v[6:7], v[79:80], v[6:7]
	v_fma_f64 v[138:139], v[238:239], s[14:15], v[136:137]
	v_fma_f64 v[79:80], v[238:239], s[14:15], -v[136:137]
	s_delay_alu instid0(VALU_DEP_2) | instskip(SKIP_1) | instid1(VALU_DEP_3)
	v_add_f64 v[81:82], v[138:139], v[81:82]
	v_mul_f64 v[138:139], v[254:255], s[48:49]
	v_add_f64 v[77:78], v[79:80], v[77:78]
	s_delay_alu instid0(VALU_DEP_2) | instskip(SKIP_1) | instid1(VALU_DEP_2)
	v_fma_f64 v[152:153], v[230:231], s[22:23], -v[138:139]
	v_fma_f64 v[79:80], v[230:231], s[22:23], v[138:139]
	v_add_f64 v[160:161], v[152:153], v[75:76]
	v_mul_f64 v[75:76], v[73:74], s[48:49]
	s_delay_alu instid0(VALU_DEP_3) | instskip(SKIP_1) | instid1(VALU_DEP_3)
	v_add_f64 v[79:80], v[79:80], v[6:7]
	v_mul_f64 v[6:7], v[208:209], s[26:27]
	v_fma_f64 v[152:153], v[242:243], s[22:23], v[75:76]
	v_fma_f64 v[75:76], v[242:243], s[22:23], -v[75:76]
	s_delay_alu instid0(VALU_DEP_2) | instskip(NEXT) | instid1(VALU_DEP_2)
	v_add_f64 v[162:163], v[152:153], v[81:82]
	v_add_f64 v[81:82], v[75:76], v[77:78]
	v_fma_f64 v[75:76], v[246:247], s[16:17], -v[6:7]
	v_mul_f64 v[77:78], v[212:213], s[52:53]
	v_fma_f64 v[6:7], v[246:247], s[16:17], v[6:7]
	s_clause 0x1
	scratch_store_b128 off, v[160:163], off offset:52
	scratch_store_b128 off, v[79:82], off offset:68
	v_add_f64 v[75:76], v[100:101], v[75:76]
	v_fma_f64 v[79:80], v[190:191], s[8:9], -v[77:78]
	v_add_f64 v[6:7], v[100:101], v[6:7]
	v_fma_f64 v[77:78], v[190:191], s[8:9], v[77:78]
	s_delay_alu instid0(VALU_DEP_3) | instskip(SKIP_1) | instid1(VALU_DEP_3)
	v_add_f64 v[75:76], v[79:80], v[75:76]
	v_mul_f64 v[79:80], v[216:217], s[26:27]
	v_add_f64 v[6:7], v[77:78], v[6:7]
	s_delay_alu instid0(VALU_DEP_2) | instskip(SKIP_3) | instid1(VALU_DEP_4)
	v_fma_f64 v[81:82], v[250:251], s[16:17], v[79:80]
	v_fma_f64 v[77:78], v[250:251], s[16:17], -v[79:80]
	v_fma_f64 v[79:80], v[198:199], s[8:9], -v[83:84]
	v_mul_f64 v[83:84], v[220:221], s[50:51]
	v_add_f64 v[81:82], v[102:103], v[81:82]
	s_delay_alu instid0(VALU_DEP_4) | instskip(NEXT) | instid1(VALU_DEP_2)
	v_add_f64 v[77:78], v[102:103], v[77:78]
	v_add_f64 v[81:82], v[85:86], v[81:82]
	v_mul_f64 v[85:86], v[224:225], s[48:49]
	s_delay_alu instid0(VALU_DEP_3) | instskip(NEXT) | instid1(VALU_DEP_2)
	v_add_f64 v[77:78], v[79:80], v[77:78]
	v_fma_f64 v[87:88], v[194:195], s[22:23], -v[85:86]
	v_fma_f64 v[79:80], v[194:195], s[22:23], v[85:86]
	v_fma_f64 v[85:86], v[198:199], s[16:17], v[83:84]
	s_delay_alu instid0(VALU_DEP_3) | instskip(SKIP_1) | instid1(VALU_DEP_4)
	v_add_f64 v[75:76], v[87:88], v[75:76]
	v_mul_f64 v[87:88], v[228:229], s[48:49]
	v_add_f64 v[6:7], v[79:80], v[6:7]
	s_delay_alu instid0(VALU_DEP_2) | instskip(SKIP_1) | instid1(VALU_DEP_2)
	v_fma_f64 v[89:90], v[206:207], s[22:23], v[87:88]
	v_fma_f64 v[79:80], v[206:207], s[22:23], -v[87:88]
	v_add_f64 v[81:82], v[89:90], v[81:82]
	v_mul_f64 v[89:90], v[232:233], s[42:43]
	s_delay_alu instid0(VALU_DEP_3) | instskip(NEXT) | instid1(VALU_DEP_2)
	v_add_f64 v[77:78], v[79:80], v[77:78]
	v_fma_f64 v[91:92], v[202:203], s[20:21], -v[89:90]
	v_fma_f64 v[79:80], v[202:203], s[20:21], v[89:90]
	s_delay_alu instid0(VALU_DEP_2) | instskip(SKIP_1) | instid1(VALU_DEP_3)
	v_add_f64 v[75:76], v[91:92], v[75:76]
	v_mul_f64 v[91:92], v[236:237], s[42:43]
	v_add_f64 v[6:7], v[79:80], v[6:7]
	s_delay_alu instid0(VALU_DEP_2) | instskip(SKIP_1) | instid1(VALU_DEP_2)
	v_fma_f64 v[93:94], v[214:215], s[20:21], v[91:92]
	v_fma_f64 v[79:80], v[214:215], s[20:21], -v[91:92]
	v_add_f64 v[81:82], v[93:94], v[81:82]
	v_mul_f64 v[93:94], v[240:241], s[34:35]
	s_delay_alu instid0(VALU_DEP_3) | instskip(NEXT) | instid1(VALU_DEP_2)
	v_add_f64 v[77:78], v[79:80], v[77:78]
	v_fma_f64 v[95:96], v[210:211], s[2:3], -v[93:94]
	v_fma_f64 v[79:80], v[210:211], s[2:3], v[93:94]
	s_delay_alu instid0(VALU_DEP_2) | instskip(SKIP_1) | instid1(VALU_DEP_3)
	;; [unrolled: 13-line block ×5, first 2 shown]
	v_add_f64 v[160:161], v[152:153], v[75:76]
	v_mul_f64 v[75:76], v[73:74], s[28:29]
	v_add_f64 v[79:80], v[79:80], v[6:7]
	v_mul_f64 v[6:7], v[208:209], s[28:29]
	s_delay_alu instid0(VALU_DEP_3) | instskip(SKIP_1) | instid1(VALU_DEP_2)
	v_fma_f64 v[152:153], v[242:243], s[14:15], v[75:76]
	v_fma_f64 v[75:76], v[242:243], s[14:15], -v[75:76]
	v_add_f64 v[162:163], v[152:153], v[81:82]
	s_delay_alu instid0(VALU_DEP_2)
	v_add_f64 v[81:82], v[75:76], v[77:78]
	v_fma_f64 v[75:76], v[246:247], s[14:15], -v[6:7]
	v_mul_f64 v[77:78], v[212:213], s[50:51]
	v_fma_f64 v[6:7], v[246:247], s[14:15], v[6:7]
	s_clause 0x1
	scratch_store_b128 off, v[160:163], off offset:84
	scratch_store_b128 off, v[79:82], off offset:100
	v_add_f64 v[75:76], v[100:101], v[75:76]
	v_fma_f64 v[79:80], v[190:191], s[16:17], -v[77:78]
	v_add_f64 v[6:7], v[100:101], v[6:7]
	v_fma_f64 v[77:78], v[190:191], s[16:17], v[77:78]
	s_delay_alu instid0(VALU_DEP_3) | instskip(SKIP_1) | instid1(VALU_DEP_3)
	v_add_f64 v[75:76], v[79:80], v[75:76]
	v_mul_f64 v[79:80], v[216:217], s[28:29]
	v_add_f64 v[6:7], v[77:78], v[6:7]
	s_delay_alu instid0(VALU_DEP_2) | instskip(SKIP_3) | instid1(VALU_DEP_4)
	v_fma_f64 v[81:82], v[250:251], s[14:15], v[79:80]
	v_fma_f64 v[77:78], v[250:251], s[14:15], -v[79:80]
	v_fma_f64 v[79:80], v[198:199], s[16:17], -v[83:84]
	v_mul_f64 v[83:84], v[220:221], s[44:45]
	v_add_f64 v[81:82], v[102:103], v[81:82]
	s_delay_alu instid0(VALU_DEP_4) | instskip(NEXT) | instid1(VALU_DEP_2)
	v_add_f64 v[77:78], v[102:103], v[77:78]
	v_add_f64 v[81:82], v[85:86], v[81:82]
	v_mul_f64 v[85:86], v[224:225], s[36:37]
	s_delay_alu instid0(VALU_DEP_3) | instskip(NEXT) | instid1(VALU_DEP_2)
	v_add_f64 v[77:78], v[79:80], v[77:78]
	v_fma_f64 v[87:88], v[194:195], s[24:25], -v[85:86]
	v_fma_f64 v[79:80], v[194:195], s[24:25], v[85:86]
	v_fma_f64 v[85:86], v[198:199], s[20:21], v[83:84]
	s_delay_alu instid0(VALU_DEP_3) | instskip(SKIP_1) | instid1(VALU_DEP_4)
	v_add_f64 v[75:76], v[87:88], v[75:76]
	v_mul_f64 v[87:88], v[228:229], s[36:37]
	v_add_f64 v[6:7], v[79:80], v[6:7]
	s_delay_alu instid0(VALU_DEP_2) | instskip(SKIP_1) | instid1(VALU_DEP_2)
	v_fma_f64 v[89:90], v[206:207], s[24:25], v[87:88]
	v_fma_f64 v[79:80], v[206:207], s[24:25], -v[87:88]
	v_add_f64 v[81:82], v[89:90], v[81:82]
	v_mul_f64 v[89:90], v[232:233], s[30:31]
	s_delay_alu instid0(VALU_DEP_3) | instskip(NEXT) | instid1(VALU_DEP_2)
	v_add_f64 v[77:78], v[79:80], v[77:78]
	v_fma_f64 v[91:92], v[202:203], s[8:9], -v[89:90]
	v_fma_f64 v[79:80], v[202:203], s[8:9], v[89:90]
	s_delay_alu instid0(VALU_DEP_2) | instskip(SKIP_1) | instid1(VALU_DEP_3)
	v_add_f64 v[75:76], v[91:92], v[75:76]
	v_mul_f64 v[91:92], v[236:237], s[30:31]
	v_add_f64 v[6:7], v[79:80], v[6:7]
	s_delay_alu instid0(VALU_DEP_2) | instskip(SKIP_1) | instid1(VALU_DEP_2)
	v_fma_f64 v[93:94], v[214:215], s[8:9], v[91:92]
	v_fma_f64 v[79:80], v[214:215], s[8:9], -v[91:92]
	v_add_f64 v[81:82], v[93:94], v[81:82]
	v_mul_f64 v[93:94], v[240:241], s[54:55]
	s_delay_alu instid0(VALU_DEP_3) | instskip(NEXT) | instid1(VALU_DEP_2)
	v_add_f64 v[77:78], v[79:80], v[77:78]
	v_fma_f64 v[95:96], v[210:211], s[18:19], -v[93:94]
	v_fma_f64 v[79:80], v[210:211], s[18:19], v[93:94]
	s_delay_alu instid0(VALU_DEP_2) | instskip(SKIP_1) | instid1(VALU_DEP_3)
	;; [unrolled: 13-line block ×5, first 2 shown]
	v_add_f64 v[160:161], v[152:153], v[75:76]
	v_mul_f64 v[75:76], v[73:74], s[44:45]
	v_add_f64 v[79:80], v[79:80], v[6:7]
	v_mul_f64 v[6:7], v[208:209], s[30:31]
	s_delay_alu instid0(VALU_DEP_3) | instskip(SKIP_1) | instid1(VALU_DEP_2)
	v_fma_f64 v[152:153], v[242:243], s[20:21], v[75:76]
	v_fma_f64 v[75:76], v[242:243], s[20:21], -v[75:76]
	v_add_f64 v[162:163], v[152:153], v[81:82]
	s_delay_alu instid0(VALU_DEP_2)
	v_add_f64 v[81:82], v[75:76], v[77:78]
	v_fma_f64 v[75:76], v[246:247], s[8:9], -v[6:7]
	v_mul_f64 v[77:78], v[212:213], s[44:45]
	v_fma_f64 v[6:7], v[246:247], s[8:9], v[6:7]
	s_clause 0x1
	scratch_store_b128 off, v[160:163], off offset:116
	scratch_store_b128 off, v[79:82], off offset:132
	v_add_f64 v[75:76], v[100:101], v[75:76]
	v_fma_f64 v[79:80], v[190:191], s[20:21], -v[77:78]
	v_add_f64 v[6:7], v[100:101], v[6:7]
	v_fma_f64 v[77:78], v[190:191], s[20:21], v[77:78]
	s_delay_alu instid0(VALU_DEP_3) | instskip(SKIP_1) | instid1(VALU_DEP_3)
	v_add_f64 v[75:76], v[79:80], v[75:76]
	v_mul_f64 v[79:80], v[216:217], s[30:31]
	v_add_f64 v[6:7], v[77:78], v[6:7]
	s_delay_alu instid0(VALU_DEP_2) | instskip(SKIP_2) | instid1(VALU_DEP_3)
	v_fma_f64 v[81:82], v[250:251], s[8:9], v[79:80]
	v_fma_f64 v[77:78], v[250:251], s[8:9], -v[79:80]
	v_fma_f64 v[79:80], v[198:199], s[20:21], -v[83:84]
	v_add_f64 v[81:82], v[102:103], v[81:82]
	s_delay_alu instid0(VALU_DEP_3) | instskip(NEXT) | instid1(VALU_DEP_2)
	v_add_f64 v[77:78], v[102:103], v[77:78]
	v_add_f64 v[81:82], v[85:86], v[81:82]
	v_mul_f64 v[85:86], v[224:225], s[38:39]
	s_delay_alu instid0(VALU_DEP_3) | instskip(NEXT) | instid1(VALU_DEP_2)
	v_add_f64 v[77:78], v[79:80], v[77:78]
	v_fma_f64 v[87:88], v[194:195], s[18:19], -v[85:86]
	v_fma_f64 v[79:80], v[194:195], s[18:19], v[85:86]
	s_delay_alu instid0(VALU_DEP_2) | instskip(SKIP_1) | instid1(VALU_DEP_3)
	v_add_f64 v[75:76], v[87:88], v[75:76]
	v_mul_f64 v[87:88], v[228:229], s[38:39]
	v_add_f64 v[6:7], v[79:80], v[6:7]
	s_delay_alu instid0(VALU_DEP_2) | instskip(SKIP_1) | instid1(VALU_DEP_2)
	v_fma_f64 v[89:90], v[206:207], s[18:19], v[87:88]
	v_fma_f64 v[79:80], v[206:207], s[18:19], -v[87:88]
	v_add_f64 v[81:82], v[89:90], v[81:82]
	v_mul_f64 v[89:90], v[232:233], s[56:57]
	s_delay_alu instid0(VALU_DEP_3) | instskip(NEXT) | instid1(VALU_DEP_2)
	v_add_f64 v[77:78], v[79:80], v[77:78]
	v_fma_f64 v[91:92], v[202:203], s[14:15], -v[89:90]
	v_fma_f64 v[79:80], v[202:203], s[14:15], v[89:90]
	s_delay_alu instid0(VALU_DEP_2) | instskip(SKIP_1) | instid1(VALU_DEP_3)
	v_add_f64 v[75:76], v[91:92], v[75:76]
	v_mul_f64 v[91:92], v[236:237], s[56:57]
	v_add_f64 v[6:7], v[79:80], v[6:7]
	s_delay_alu instid0(VALU_DEP_2) | instskip(SKIP_1) | instid1(VALU_DEP_2)
	v_fma_f64 v[93:94], v[214:215], s[14:15], v[91:92]
	v_fma_f64 v[79:80], v[214:215], s[14:15], -v[91:92]
	;; [unrolled: 13-line block ×3, first 2 shown]
	v_add_f64 v[81:82], v[97:98], v[81:82]
	v_mul_f64 v[97:98], v[4:5], s[34:35]
	s_delay_alu instid0(VALU_DEP_3) | instskip(SKIP_1) | instid1(VALU_DEP_3)
	v_add_f64 v[77:78], v[79:80], v[77:78]
	v_mul_f64 v[4:5], v[4:5], s[44:45]
	v_fma_f64 v[104:105], v[218:219], s[2:3], -v[97:98]
	v_fma_f64 v[79:80], v[218:219], s[2:3], v[97:98]
	s_delay_alu instid0(VALU_DEP_2) | instskip(SKIP_1) | instid1(VALU_DEP_3)
	v_add_f64 v[75:76], v[104:105], v[75:76]
	v_mul_f64 v[104:105], v[248:249], s[34:35]
	v_add_f64 v[6:7], v[79:80], v[6:7]
	s_delay_alu instid0(VALU_DEP_2) | instskip(SKIP_1) | instid1(VALU_DEP_2)
	v_fma_f64 v[106:107], v[234:235], s[2:3], v[104:105]
	v_fma_f64 v[79:80], v[234:235], s[2:3], -v[104:105]
	v_add_f64 v[81:82], v[106:107], v[81:82]
	v_mul_f64 v[106:107], v[252:253], s[48:49]
	s_delay_alu instid0(VALU_DEP_3) | instskip(NEXT) | instid1(VALU_DEP_2)
	v_add_f64 v[77:78], v[79:80], v[77:78]
	v_fma_f64 v[136:137], v[222:223], s[22:23], -v[106:107]
	v_fma_f64 v[79:80], v[222:223], s[22:23], v[106:107]
	s_delay_alu instid0(VALU_DEP_2) | instskip(SKIP_1) | instid1(VALU_DEP_3)
	v_add_f64 v[75:76], v[136:137], v[75:76]
	v_mul_f64 v[136:137], v[71:72], s[48:49]
	v_add_f64 v[6:7], v[79:80], v[6:7]
	v_mul_f64 v[71:72], v[71:72], s[26:27]
	s_delay_alu instid0(VALU_DEP_3) | instskip(SKIP_1) | instid1(VALU_DEP_2)
	v_fma_f64 v[138:139], v[238:239], s[22:23], v[136:137]
	v_fma_f64 v[79:80], v[238:239], s[22:23], -v[136:137]
	v_add_f64 v[81:82], v[138:139], v[81:82]
	v_mul_f64 v[138:139], v[254:255], s[26:27]
	s_delay_alu instid0(VALU_DEP_3) | instskip(NEXT) | instid1(VALU_DEP_2)
	v_add_f64 v[77:78], v[79:80], v[77:78]
	v_fma_f64 v[152:153], v[230:231], s[16:17], -v[138:139]
	v_fma_f64 v[79:80], v[230:231], s[16:17], v[138:139]
	s_delay_alu instid0(VALU_DEP_2) | instskip(SKIP_1) | instid1(VALU_DEP_3)
	v_add_f64 v[160:161], v[152:153], v[75:76]
	v_mul_f64 v[75:76], v[73:74], s[26:27]
	v_add_f64 v[79:80], v[79:80], v[6:7]
	v_mul_f64 v[6:7], v[208:209], s[34:35]
	v_mul_f64 v[73:74], v[73:74], s[54:55]
	s_delay_alu instid0(VALU_DEP_4) | instskip(SKIP_1) | instid1(VALU_DEP_2)
	v_fma_f64 v[152:153], v[242:243], s[16:17], v[75:76]
	v_fma_f64 v[75:76], v[242:243], s[16:17], -v[75:76]
	v_add_f64 v[162:163], v[152:153], v[81:82]
	s_delay_alu instid0(VALU_DEP_2)
	v_add_f64 v[81:82], v[75:76], v[77:78]
	v_mul_f64 v[75:76], v[212:213], s[46:47]
	v_fma_f64 v[77:78], v[246:247], s[2:3], -v[6:7]
	v_fma_f64 v[6:7], v[246:247], s[2:3], v[6:7]
	scratch_load_b32 v212, off, off         ; 4-byte Folded Reload
	s_clause 0x1
	scratch_store_b128 off, v[160:163], off offset:148
	scratch_store_b128 off, v[79:82], off offset:164
	v_fma_f64 v[79:80], v[190:191], s[24:25], -v[75:76]
	v_add_f64 v[77:78], v[100:101], v[77:78]
	v_mul_f64 v[81:82], v[220:221], s[46:47]
	v_add_f64 v[6:7], v[100:101], v[6:7]
	v_fma_f64 v[75:76], v[190:191], s[24:25], v[75:76]
	scratch_load_b32 v160, off, off offset:824 ; 4-byte Folded Reload
	v_add_f64 v[77:78], v[79:80], v[77:78]
	v_mul_f64 v[79:80], v[216:217], s[34:35]
	v_fma_f64 v[85:86], v[198:199], s[24:25], v[81:82]
	v_add_f64 v[6:7], v[75:76], v[6:7]
	s_delay_alu instid0(VALU_DEP_3) | instskip(SKIP_1) | instid1(VALU_DEP_2)
	v_fma_f64 v[83:84], v[250:251], s[2:3], v[79:80]
	v_fma_f64 v[75:76], v[250:251], s[2:3], -v[79:80]
	v_add_f64 v[83:84], v[102:103], v[83:84]
	s_delay_alu instid0(VALU_DEP_2) | instskip(NEXT) | instid1(VALU_DEP_2)
	v_add_f64 v[75:76], v[102:103], v[75:76]
	v_add_f64 v[83:84], v[85:86], v[83:84]
	v_mul_f64 v[85:86], v[224:225], s[30:31]
	s_delay_alu instid0(VALU_DEP_1) | instskip(NEXT) | instid1(VALU_DEP_1)
	v_fma_f64 v[87:88], v[194:195], s[8:9], -v[85:86]
	v_add_f64 v[77:78], v[87:88], v[77:78]
	v_mul_f64 v[87:88], v[228:229], s[30:31]
	s_delay_alu instid0(VALU_DEP_1) | instskip(NEXT) | instid1(VALU_DEP_1)
	v_fma_f64 v[89:90], v[206:207], s[8:9], v[87:88]
	v_add_f64 v[83:84], v[89:90], v[83:84]
	v_mul_f64 v[89:90], v[232:233], s[48:49]
	s_delay_alu instid0(VALU_DEP_1) | instskip(NEXT) | instid1(VALU_DEP_1)
	v_fma_f64 v[91:92], v[202:203], s[22:23], -v[89:90]
	v_add_f64 v[77:78], v[91:92], v[77:78]
	v_mul_f64 v[91:92], v[236:237], s[48:49]
	s_delay_alu instid0(VALU_DEP_1) | instskip(NEXT) | instid1(VALU_DEP_1)
	v_fma_f64 v[93:94], v[214:215], s[22:23], v[91:92]
	;; [unrolled: 8-line block ×3, first 2 shown]
	v_add_f64 v[83:84], v[97:98], v[83:84]
	v_fma_f64 v[97:98], v[218:219], s[20:21], -v[4:5]
	v_fma_f64 v[4:5], v[218:219], s[20:21], v[4:5]
	s_delay_alu instid0(VALU_DEP_2) | instskip(SKIP_1) | instid1(VALU_DEP_1)
	v_add_f64 v[77:78], v[97:98], v[77:78]
	v_mul_f64 v[97:98], v[248:249], s[44:45]
	v_fma_f64 v[104:105], v[234:235], s[20:21], v[97:98]
	s_delay_alu instid0(VALU_DEP_1) | instskip(SKIP_1) | instid1(VALU_DEP_1)
	v_add_f64 v[83:84], v[104:105], v[83:84]
	v_mul_f64 v[104:105], v[252:253], s[26:27]
	v_fma_f64 v[106:107], v[222:223], s[16:17], -v[104:105]
	s_delay_alu instid0(VALU_DEP_1) | instskip(SKIP_2) | instid1(VALU_DEP_2)
	v_add_f64 v[77:78], v[106:107], v[77:78]
	v_fma_f64 v[106:107], v[238:239], s[16:17], v[71:72]
	v_fma_f64 v[71:72], v[238:239], s[16:17], -v[71:72]
	v_add_f64 v[83:84], v[106:107], v[83:84]
	v_mul_f64 v[106:107], v[254:255], s[54:55]
	s_delay_alu instid0(VALU_DEP_1) | instskip(NEXT) | instid1(VALU_DEP_1)
	v_fma_f64 v[136:137], v[230:231], s[18:19], -v[106:107]
	v_add_f64 v[136:137], v[136:137], v[77:78]
	v_fma_f64 v[77:78], v[242:243], s[18:19], v[73:74]
	v_fma_f64 v[73:74], v[242:243], s[18:19], -v[73:74]
	s_delay_alu instid0(VALU_DEP_2) | instskip(SKIP_1) | instid1(VALU_DEP_1)
	v_add_f64 v[138:139], v[77:78], v[83:84]
	v_fma_f64 v[77:78], v[198:199], s[24:25], -v[81:82]
	v_add_f64 v[75:76], v[77:78], v[75:76]
	v_fma_f64 v[77:78], v[194:195], s[8:9], v[85:86]
	s_delay_alu instid0(VALU_DEP_1) | instskip(SKIP_1) | instid1(VALU_DEP_1)
	v_add_f64 v[6:7], v[77:78], v[6:7]
	v_fma_f64 v[77:78], v[206:207], s[8:9], -v[87:88]
	v_add_f64 v[75:76], v[77:78], v[75:76]
	v_fma_f64 v[77:78], v[202:203], s[22:23], v[89:90]
	s_delay_alu instid0(VALU_DEP_1) | instskip(SKIP_3) | instid1(VALU_DEP_2)
	v_add_f64 v[6:7], v[77:78], v[6:7]
	v_fma_f64 v[77:78], v[214:215], s[22:23], -v[91:92]
	s_waitcnt vmcnt(0)
	v_lshlrev_b32_e32 v91, 4, v160
	v_add_f64 v[75:76], v[77:78], v[75:76]
	v_fma_f64 v[77:78], v[210:211], s[14:15], v[93:94]
	s_delay_alu instid0(VALU_DEP_1) | instskip(SKIP_1) | instid1(VALU_DEP_2)
	v_add_f64 v[6:7], v[77:78], v[6:7]
	v_fma_f64 v[77:78], v[226:227], s[14:15], -v[95:96]
	v_add_f64 v[4:5], v[4:5], v[6:7]
	s_delay_alu instid0(VALU_DEP_2) | instskip(SKIP_1) | instid1(VALU_DEP_1)
	v_add_f64 v[75:76], v[77:78], v[75:76]
	v_fma_f64 v[6:7], v[234:235], s[20:21], -v[97:98]
	v_add_f64 v[6:7], v[6:7], v[75:76]
	v_fma_f64 v[75:76], v[222:223], s[16:17], v[104:105]
	s_delay_alu instid0(VALU_DEP_2) | instskip(NEXT) | instid1(VALU_DEP_2)
	v_add_f64 v[6:7], v[71:72], v[6:7]
	v_add_f64 v[4:5], v[75:76], v[4:5]
	v_fma_f64 v[71:72], v[230:231], s[18:19], v[106:107]
	s_delay_alu instid0(VALU_DEP_3) | instskip(NEXT) | instid1(VALU_DEP_2)
	v_add_f64 v[6:7], v[73:74], v[6:7]
	v_add_f64 v[4:5], v[71:72], v[4:5]
	s_clause 0x1
	scratch_store_b128 off, v[136:139], off offset:180
	scratch_store_b128 off, v[4:7], off offset:196
	v_mul_lo_u16 v4, v212, 17
	s_waitcnt_vscnt null, 0x0
	s_barrier
	buffer_gl0_inv
	v_and_b32_e32 v4, 0xffff, v4
	s_delay_alu instid0(VALU_DEP_1)
	v_lshl_add_u32 v208, v4, 4, v91
	scratch_load_b128 v[4:7], off, off offset:508 ; 16-byte Folded Reload
	s_waitcnt vmcnt(0)
	ds_store_b128 v208, v[4:7]
	ds_store_b128 v208, v[8:11] offset:16
	ds_store_b128 v208, v[16:19] offset:32
	;; [unrolled: 1-line block ×16, first 2 shown]
	v_add_co_u32 v0, null, v212, 17
	s_delay_alu instid0(VALU_DEP_1)
	v_mul_u32_u24_e32 v0, 17, v0
	scratch_store_b32 off, v0, off offset:668 ; 4-byte Folded Spill
	s_and_saveexec_b32 s26, vcc_lo
	s_cbranch_execz .LBB0_7
; %bb.6:
	v_add_f64 v[0:1], v[102:103], v[110:111]
	v_add_f64 v[2:3], v[100:101], v[108:109]
	s_clause 0x8
	scratch_load_b64 v[10:11], off, off offset:952
	scratch_load_b64 v[20:21], off, off offset:960
	;; [unrolled: 1-line block ×9, first 2 shown]
	v_mul_f64 v[8:9], v[250:251], s[22:23]
	v_mul_f64 v[6:7], v[246:247], s[20:21]
	;; [unrolled: 1-line block ×6, first 2 shown]
	v_add_f64 v[0:1], v[0:1], v[114:115]
	v_add_f64 v[2:3], v[2:3], v[112:113]
	v_add_f64 v[6:7], v[6:7], -v[196:197]
	v_add_f64 v[30:31], v[30:31], -v[154:155]
	v_add_f64 v[32:33], v[200:201], v[32:33]
	v_add_f64 v[0:1], v[0:1], v[126:127]
	;; [unrolled: 1-line block ×4, first 2 shown]
	s_delay_alu instid0(VALU_DEP_3) | instskip(NEXT) | instid1(VALU_DEP_3)
	v_add_f64 v[0:1], v[0:1], v[146:147]
	v_add_f64 v[2:3], v[2:3], v[144:145]
	s_delay_alu instid0(VALU_DEP_2) | instskip(NEXT) | instid1(VALU_DEP_2)
	v_add_f64 v[0:1], v[0:1], v[158:159]
	v_add_f64 v[2:3], v[2:3], v[156:157]
	s_delay_alu instid0(VALU_DEP_2) | instskip(NEXT) | instid1(VALU_DEP_2)
	;; [unrolled: 3-line block ×5, first 2 shown]
	v_add_f64 v[0:1], v[0:1], v[174:175]
	v_add_f64 v[2:3], v[2:3], v[172:173]
	s_waitcnt vmcnt(8)
	v_add_f64 v[8:9], v[10:11], v[8:9]
	v_mul_f64 v[10:11], v[246:247], s[22:23]
	s_waitcnt vmcnt(6)
	v_add_f64 v[22:23], v[22:23], -v[24:25]
	v_mul_f64 v[24:25], v[214:215], s[16:17]
	s_waitcnt vmcnt(5)
	v_add_f64 v[26:27], v[26:27], -v[28:29]
	v_mul_f64 v[28:29], v[226:227], s[22:23]
	v_add_f64 v[0:1], v[0:1], v[170:171]
	v_add_f64 v[2:3], v[2:3], v[168:169]
	;; [unrolled: 1-line block ×3, first 2 shown]
	s_waitcnt vmcnt(4)
	v_add_f64 v[10:11], v[10:11], -v[12:13]
	v_mul_f64 v[12:13], v[250:251], s[24:25]
	v_add_f64 v[24:25], v[166:167], v[24:25]
	v_add_f64 v[28:29], v[188:189], v[28:29]
	;; [unrolled: 1-line block ×5, first 2 shown]
	s_waitcnt vmcnt(2)
	v_add_f64 v[12:13], v[14:15], v[12:13]
	v_mul_f64 v[14:15], v[246:247], s[24:25]
	v_add_f64 v[0:1], v[0:1], v[142:143]
	v_add_f64 v[2:3], v[2:3], v[140:141]
	s_delay_alu instid0(VALU_DEP_4) | instskip(SKIP_1) | instid1(VALU_DEP_4)
	v_add_f64 v[12:13], v[102:103], v[12:13]
	s_waitcnt vmcnt(1)
	v_add_f64 v[14:15], v[14:15], -v[16:17]
	v_mul_f64 v[16:17], v[198:199], s[14:15]
	v_add_f64 v[0:1], v[0:1], v[134:135]
	v_add_f64 v[2:3], v[2:3], v[132:133]
	s_delay_alu instid0(VALU_DEP_4) | instskip(SKIP_1) | instid1(VALU_DEP_4)
	v_add_f64 v[14:15], v[100:101], v[14:15]
	s_waitcnt vmcnt(0)
	v_add_f64 v[16:17], v[18:19], v[16:17]
	v_mul_f64 v[18:19], v[190:191], s[14:15]
	v_add_f64 v[0:1], v[0:1], v[122:123]
	v_add_f64 v[2:3], v[2:3], v[120:121]
	s_delay_alu instid0(VALU_DEP_3) | instskip(SKIP_1) | instid1(VALU_DEP_4)
	v_add_f64 v[18:19], v[18:19], -v[20:21]
	v_mul_f64 v[20:21], v[206:207], s[2:3]
	v_add_f64 v[0:1], v[0:1], v[118:119]
	s_delay_alu instid0(VALU_DEP_4) | instskip(NEXT) | instid1(VALU_DEP_4)
	v_add_f64 v[4:5], v[2:3], v[116:117]
	v_add_f64 v[6:7], v[18:19], v[6:7]
	s_delay_alu instid0(VALU_DEP_4)
	v_add_f64 v[20:21], v[164:165], v[20:21]
	scratch_load_b64 v[18:19], off, off offset:1008 ; 8-byte Folded Reload
	v_add_f64 v[2:3], v[0:1], v[130:131]
	v_add_f64 v[0:1], v[4:5], v[128:129]
	v_mul_f64 v[4:5], v[250:251], s[20:21]
	v_add_f64 v[6:7], v[22:23], v[6:7]
	scratch_load_b64 v[22:23], off, off offset:992 ; 8-byte Folded Reload
	v_add_f64 v[4:5], v[204:205], v[4:5]
	v_add_f64 v[6:7], v[26:27], v[6:7]
	scratch_load_b64 v[26:27], off, off offset:904 ; 8-byte Folded Reload
	v_add_f64 v[4:5], v[102:103], v[4:5]
	;; [unrolled: 3-line block ×3, first 2 shown]
	v_mul_f64 v[16:17], v[218:219], s[24:25]
	s_delay_alu instid0(VALU_DEP_2) | instskip(SKIP_1) | instid1(VALU_DEP_2)
	v_add_f64 v[4:5], v[20:21], v[4:5]
	v_mul_f64 v[20:21], v[222:223], s[18:19]
	v_add_f64 v[4:5], v[24:25], v[4:5]
	scratch_load_b64 v[24:25], off, off offset:976 ; 8-byte Folded Reload
	v_add_f64 v[4:5], v[28:29], v[4:5]
	scratch_load_b64 v[28:29], off, off offset:816 ; 8-byte Folded Reload
	;; [unrolled: 2-line block ×3, first 2 shown]
	s_waitcnt vmcnt(6)
	v_add_f64 v[16:17], v[16:17], -v[18:19]
	v_mul_f64 v[18:19], v[238:239], s[18:19]
	s_waitcnt vmcnt(5)
	v_add_f64 v[20:21], v[20:21], -v[22:23]
	v_mul_f64 v[22:23], v[242:243], s[8:9]
	s_delay_alu instid0(VALU_DEP_3) | instskip(SKIP_2) | instid1(VALU_DEP_4)
	v_add_f64 v[18:19], v[192:193], v[18:19]
	v_add_f64 v[6:7], v[16:17], v[6:7]
	v_mul_f64 v[16:17], v[230:231], s[8:9]
	v_add_f64 v[22:23], v[68:69], v[22:23]
	s_delay_alu instid0(VALU_DEP_4) | instskip(NEXT) | instid1(VALU_DEP_4)
	v_add_f64 v[4:5], v[18:19], v[4:5]
	v_add_f64 v[18:19], v[20:21], v[6:7]
	scratch_load_b64 v[20:21], off, off offset:784 ; 8-byte Folded Reload
	v_add_f64 v[6:7], v[22:23], v[4:5]
	scratch_load_b64 v[22:23], off, off offset:896 ; 8-byte Folded Reload
	s_waitcnt vmcnt(4)
	v_add_f64 v[16:17], v[16:17], -v[24:25]
	scratch_load_b64 v[24:25], off, off offset:800 ; 8-byte Folded Reload
	v_add_f64 v[4:5], v[16:17], v[18:19]
	scratch_load_b64 v[18:19], off, off offset:864 ; 8-byte Folded Reload
	v_mul_f64 v[16:17], v[198:199], s[18:19]
	s_waitcnt vmcnt(0)
	s_delay_alu instid0(VALU_DEP_1) | instskip(SKIP_1) | instid1(VALU_DEP_2)
	v_add_f64 v[16:17], v[18:19], v[16:17]
	v_mul_f64 v[18:19], v[190:191], s[18:19]
	v_add_f64 v[8:9], v[16:17], v[8:9]
	s_delay_alu instid0(VALU_DEP_2) | instskip(SKIP_2) | instid1(VALU_DEP_3)
	v_add_f64 v[18:19], v[18:19], -v[20:21]
	v_mul_f64 v[20:21], v[206:207], s[14:15]
	v_mul_f64 v[16:17], v[218:219], s[16:17]
	v_add_f64 v[10:11], v[18:19], v[10:11]
	s_delay_alu instid0(VALU_DEP_3) | instskip(SKIP_1) | instid1(VALU_DEP_2)
	v_add_f64 v[20:21], v[22:23], v[20:21]
	v_mul_f64 v[22:23], v[194:195], s[14:15]
	v_add_f64 v[8:9], v[20:21], v[8:9]
	s_clause 0x1
	scratch_load_b64 v[20:21], off, off offset:928
	scratch_load_b64 v[18:19], off, off offset:888
	v_add_f64 v[22:23], v[22:23], -v[24:25]
	v_mul_f64 v[24:25], v[214:215], s[2:3]
	s_delay_alu instid0(VALU_DEP_2) | instskip(SKIP_3) | instid1(VALU_DEP_2)
	v_add_f64 v[10:11], v[22:23], v[10:11]
	scratch_load_b64 v[22:23], off, off offset:840 ; 8-byte Folded Reload
	v_add_f64 v[24:25], v[26:27], v[24:25]
	v_mul_f64 v[26:27], v[202:203], s[2:3]
	v_add_f64 v[8:9], v[24:25], v[8:9]
	scratch_load_b64 v[24:25], off, off offset:912 ; 8-byte Folded Reload
	v_add_f64 v[26:27], v[26:27], -v[28:29]
	v_mul_f64 v[28:29], v[226:227], s[8:9]
	s_delay_alu instid0(VALU_DEP_2) | instskip(NEXT) | instid1(VALU_DEP_2)
	v_add_f64 v[10:11], v[26:27], v[10:11]
	v_add_f64 v[28:29], v[30:31], v[28:29]
	v_mul_f64 v[30:31], v[210:211], s[8:9]
	scratch_load_b64 v[26:27], off, off offset:620 ; 8-byte Folded Reload
	v_add_f64 v[8:9], v[28:29], v[8:9]
	scratch_load_b64 v[28:29], off, off offset:572 ; 8-byte Folded Reload
	s_waitcnt vmcnt(4)
	v_add_f64 v[16:17], v[16:17], -v[18:19]
	v_mul_f64 v[18:19], v[238:239], s[20:21]
	s_delay_alu instid0(VALU_DEP_1) | instskip(SKIP_2) | instid1(VALU_DEP_1)
	v_add_f64 v[18:19], v[20:21], v[18:19]
	v_mul_f64 v[20:21], v[222:223], s[20:21]
	s_waitcnt vmcnt(3)
	v_add_f64 v[20:21], v[20:21], -v[22:23]
	v_mul_f64 v[22:23], v[242:243], s[24:25]
	s_waitcnt vmcnt(2)
	s_delay_alu instid0(VALU_DEP_1) | instskip(SKIP_3) | instid1(VALU_DEP_2)
	v_add_f64 v[22:23], v[24:25], v[22:23]
	scratch_load_b64 v[24:25], off, off offset:808 ; 8-byte Folded Reload
	v_add_f64 v[30:31], v[30:31], -v[32:33]
	v_mul_f64 v[32:33], v[234:235], s[16:17]
	v_add_f64 v[10:11], v[30:31], v[10:11]
	s_delay_alu instid0(VALU_DEP_2)
	v_add_f64 v[32:33], v[34:35], v[32:33]
	s_clause 0x1
	scratch_load_b64 v[30:31], off, off offset:672
	scratch_load_b64 v[34:35], off, off offset:704
	v_add_f64 v[10:11], v[16:17], v[10:11]
	v_add_f64 v[8:9], v[32:33], v[8:9]
	v_mul_f64 v[16:17], v[230:231], s[24:25]
	s_delay_alu instid0(VALU_DEP_2) | instskip(NEXT) | instid1(VALU_DEP_4)
	v_add_f64 v[8:9], v[18:19], v[8:9]
	v_add_f64 v[18:19], v[20:21], v[10:11]
	scratch_load_b64 v[20:21], off, off offset:524 ; 8-byte Folded Reload
	v_add_f64 v[10:11], v[22:23], v[8:9]
	scratch_load_b64 v[22:23], off, off offset:588 ; 8-byte Folded Reload
	s_waitcnt vmcnt(4)
	v_add_f64 v[16:17], v[16:17], -v[24:25]
	scratch_load_b64 v[24:25], off, off offset:540 ; 8-byte Folded Reload
	v_add_f64 v[8:9], v[16:17], v[18:19]
	scratch_load_b64 v[18:19], off, off offset:556 ; 8-byte Folded Reload
	v_mul_f64 v[16:17], v[198:199], s[22:23]
	s_waitcnt vmcnt(0)
	s_delay_alu instid0(VALU_DEP_1) | instskip(SKIP_1) | instid1(VALU_DEP_2)
	v_add_f64 v[16:17], v[18:19], v[16:17]
	v_mul_f64 v[18:19], v[190:191], s[22:23]
	v_add_f64 v[12:13], v[16:17], v[12:13]
	s_delay_alu instid0(VALU_DEP_2) | instskip(SKIP_2) | instid1(VALU_DEP_3)
	v_add_f64 v[18:19], v[18:19], -v[20:21]
	v_mul_f64 v[20:21], v[206:207], s[20:21]
	v_mul_f64 v[16:17], v[218:219], s[14:15]
	v_add_f64 v[14:15], v[18:19], v[14:15]
	s_clause 0x1
	scratch_load_b64 v[18:19], off, off offset:636
	scratch_load_b64 v[32:33], off, off offset:604
	v_add_f64 v[20:21], v[22:23], v[20:21]
	v_mul_f64 v[22:23], v[194:195], s[20:21]
	s_delay_alu instid0(VALU_DEP_2) | instskip(NEXT) | instid1(VALU_DEP_2)
	v_add_f64 v[12:13], v[20:21], v[12:13]
	v_add_f64 v[22:23], v[22:23], -v[24:25]
	v_mul_f64 v[24:25], v[214:215], s[18:19]
	scratch_load_b64 v[20:21], off, off offset:720 ; 8-byte Folded Reload
	v_add_f64 v[14:15], v[22:23], v[14:15]
	v_add_f64 v[24:25], v[26:27], v[24:25]
	scratch_load_b64 v[22:23], off, off offset:652 ; 8-byte Folded Reload
	v_mul_f64 v[26:27], v[202:203], s[18:19]
	v_add_f64 v[12:13], v[24:25], v[12:13]
	scratch_load_b64 v[24:25], off, off offset:736 ; 8-byte Folded Reload
	v_add_f64 v[26:27], v[26:27], -v[28:29]
	v_mul_f64 v[28:29], v[226:227], s[16:17]
	s_delay_alu instid0(VALU_DEP_2) | instskip(NEXT) | instid1(VALU_DEP_2)
	v_add_f64 v[14:15], v[26:27], v[14:15]
	v_add_f64 v[28:29], v[30:31], v[28:29]
	v_mul_f64 v[30:31], v[210:211], s[16:17]
	s_delay_alu instid0(VALU_DEP_2) | instskip(SKIP_4) | instid1(VALU_DEP_4)
	v_add_f64 v[12:13], v[28:29], v[12:13]
	s_waitcnt vmcnt(4)
	v_add_f64 v[16:17], v[16:17], -v[18:19]
	v_mul_f64 v[18:19], v[238:239], s[8:9]
	s_waitcnt vmcnt(3)
	v_add_f64 v[30:31], v[30:31], -v[32:33]
	v_mul_f64 v[32:33], v[234:235], s[14:15]
	s_delay_alu instid0(VALU_DEP_2) | instskip(NEXT) | instid1(VALU_DEP_2)
	v_add_f64 v[14:15], v[30:31], v[14:15]
	v_add_f64 v[32:33], v[34:35], v[32:33]
	s_waitcnt vmcnt(2)
	v_add_f64 v[18:19], v[20:21], v[18:19]
	v_mul_f64 v[20:21], v[222:223], s[8:9]
	s_delay_alu instid0(VALU_DEP_4) | instskip(NEXT) | instid1(VALU_DEP_4)
	v_add_f64 v[14:15], v[16:17], v[14:15]
	v_add_f64 v[12:13], v[32:33], v[12:13]
	v_mul_f64 v[16:17], v[230:231], s[2:3]
	s_waitcnt vmcnt(1)
	s_delay_alu instid0(VALU_DEP_4) | instskip(SKIP_1) | instid1(VALU_DEP_4)
	v_add_f64 v[20:21], v[20:21], -v[22:23]
	v_mul_f64 v[22:23], v[242:243], s[2:3]
	v_add_f64 v[12:13], v[18:19], v[12:13]
	s_delay_alu instid0(VALU_DEP_3) | instskip(SKIP_1) | instid1(VALU_DEP_3)
	v_add_f64 v[18:19], v[20:21], v[14:15]
	s_waitcnt vmcnt(0)
	v_add_f64 v[22:23], v[24:25], v[22:23]
	scratch_load_b64 v[24:25], off, off offset:688 ; 8-byte Folded Reload
	v_add_f64 v[14:15], v[22:23], v[12:13]
	s_waitcnt vmcnt(0)
	v_add_f64 v[16:17], v[16:17], -v[24:25]
	s_delay_alu instid0(VALU_DEP_1)
	v_add_f64 v[12:13], v[16:17], v[18:19]
	scratch_load_b32 v16, off, off offset:668 ; 4-byte Folded Reload
	s_waitcnt vmcnt(0)
	v_lshl_add_u32 v16, v16, 4, v91
	ds_store_b128 v16, v[8:11] offset:32
	ds_store_b128 v16, v[4:7] offset:48
	;; [unrolled: 1-line block ×3, first 2 shown]
	scratch_load_b128 v[4:7], off, off offset:52 ; 16-byte Folded Reload
	s_waitcnt vmcnt(0)
	ds_store_b128 v16, v[4:7] offset:64
	scratch_load_b128 v[4:7], off, off offset:84 ; 16-byte Folded Reload
	s_waitcnt vmcnt(0)
	ds_store_b128 v16, v[4:7] offset:80
	;; [unrolled: 3-line block ×12, first 2 shown]
	ds_store_b128 v16, v[0:3]
	scratch_load_b128 v[0:3], off, off offset:4 ; 16-byte Folded Reload
	s_waitcnt vmcnt(0)
	ds_store_b128 v16, v[0:3] offset:256
.LBB0_7:
	s_or_b32 exec_lo, exec_lo, s26
	v_lshlrev_b32_e32 v0, 5, v212
	s_waitcnt lgkmcnt(0)
	s_waitcnt_vscnt null, 0x0
	s_barrier
	buffer_gl0_inv
	v_add_nc_u16 v1, v212, 34
	s_clause 0x1
	global_load_b128 v[200:203], v0, s[0:1]
	global_load_b128 v[100:103], v0, s[0:1] offset:16
	s_mov_b32 s2, 0xe8584caa
	s_mov_b32 s3, 0x3febb67a
	v_and_b32_e32 v0, 0xff, v1
	s_mov_b32 s9, 0xbfebb67a
	s_mov_b32 s8, s2
	;; [unrolled: 1-line block ×4, first 2 shown]
	v_mul_lo_u16 v0, 0xf1, v0
	s_mov_b32 s22, 0x37e14327
	s_mov_b32 s23, 0x3fe948f6
	;; [unrolled: 1-line block ×4, first 2 shown]
	v_lshrrev_b16 v0, 12, v0
	s_mov_b32 s19, 0xbff2aaaa
	s_mov_b32 s25, 0xbfe77f67
	;; [unrolled: 1-line block ×4, first 2 shown]
	v_mul_lo_u16 v0, v0, 17
	s_mov_b32 s26, s20
	s_mov_b32 s16, 0x37c3f68c
	;; [unrolled: 1-line block ×3, first 2 shown]
	v_lshl_add_u32 v209, v160, 4, v70
	v_sub_nc_u16 v36, v1, v0
	v_add_nc_u16 v1, v212, 51
	v_mov_b32_e32 v238, v91
	s_delay_alu instid0(VALU_DEP_3) | instskip(NEXT) | instid1(VALU_DEP_3)
	v_lshlrev_b16 v0, 1, v36
	v_and_b32_e32 v2, 0xff, v1
	s_delay_alu instid0(VALU_DEP_2) | instskip(NEXT) | instid1(VALU_DEP_1)
	v_and_b32_e32 v0, 0xfe, v0
	v_lshlrev_b32_e32 v0, 4, v0
	s_clause 0x1
	global_load_b128 v[217:220], v0, s[0:1]
	global_load_b128 v[213:216], v0, s[0:1] offset:16
	v_mul_lo_u16 v0, 0xf1, v2
	s_delay_alu instid0(VALU_DEP_1) | instskip(NEXT) | instid1(VALU_DEP_1)
	v_lshrrev_b16 v0, 12, v0
	v_mul_lo_u16 v0, v0, 17
	s_delay_alu instid0(VALU_DEP_1) | instskip(NEXT) | instid1(VALU_DEP_1)
	v_sub_nc_u16 v37, v1, v0
	v_lshlrev_b16 v0, 1, v37
	s_delay_alu instid0(VALU_DEP_1) | instskip(NEXT) | instid1(VALU_DEP_1)
	v_and_b32_e32 v0, 0xfe, v0
	v_lshlrev_b32_e32 v32, 4, v0
	global_load_b128 v[204:207], v32, s[0:1]
	ds_load_b128 v[0:3], v99 offset:1904
	ds_load_b128 v[4:7], v99 offset:3808
	;; [unrolled: 1-line block ×3, first 2 shown]
	global_load_b128 v[229:232], v32, s[0:1] offset:16
	ds_load_b128 v[12:15], v99 offset:4080
	ds_load_b128 v[16:19], v99 offset:2448
	;; [unrolled: 1-line block ×3, first 2 shown]
	s_waitcnt vmcnt(5) lgkmcnt(5)
	v_mul_f64 v[20:21], v[2:3], v[202:203]
	s_waitcnt vmcnt(4) lgkmcnt(4)
	v_mul_f64 v[24:25], v[6:7], v[102:103]
	v_mul_f64 v[26:27], v[4:5], v[102:103]
	s_waitcnt lgkmcnt(3)
	v_mul_f64 v[28:29], v[10:11], v[202:203]
	v_mul_f64 v[30:31], v[8:9], v[202:203]
	;; [unrolled: 1-line block ×3, first 2 shown]
	v_fma_f64 v[45:46], v[0:1], v[200:201], -v[20:21]
	v_fma_f64 v[49:50], v[4:5], v[100:101], -v[24:25]
	v_fma_f64 v[51:52], v[6:7], v[100:101], v[26:27]
	ds_load_b128 v[4:7], v99 offset:4352
	s_waitcnt lgkmcnt(3)
	v_mul_f64 v[0:1], v[14:15], v[102:103]
	v_fma_f64 v[57:58], v[8:9], v[200:201], -v[28:29]
	ds_load_b128 v[26:29], v99 offset:3264
	v_fma_f64 v[59:60], v[10:11], v[200:201], v[30:31]
	s_waitcnt vmcnt(3) lgkmcnt(3)
	v_mul_f64 v[10:11], v[16:17], v[219:220]
	v_fma_f64 v[47:48], v[2:3], v[200:201], v[22:23]
	v_mul_f64 v[2:3], v[12:13], v[102:103]
	v_mul_f64 v[8:9], v[18:19], v[219:220]
	v_add_f64 v[53:54], v[45:46], v[49:50]
	v_fma_f64 v[61:62], v[12:13], v[100:101], -v[0:1]
	s_waitcnt vmcnt(2) lgkmcnt(1)
	v_mul_f64 v[0:1], v[6:7], v[215:216]
	v_fma_f64 v[12:13], v[18:19], v[217:218], v[10:11]
	ds_load_b128 v[18:21], v99 offset:2720
	v_fma_f64 v[63:64], v[14:15], v[100:101], v[2:3]
	v_mul_f64 v[14:15], v[4:5], v[215:216]
	v_fma_f64 v[2:3], v[16:17], v[217:218], -v[8:9]
	v_add_f64 v[55:56], v[47:48], v[51:52]
	v_add_f64 v[65:66], v[57:58], v[61:62]
	v_fma_f64 v[10:11], v[4:5], v[213:214], -v[0:1]
	s_waitcnt vmcnt(1) lgkmcnt(0)
	v_mul_f64 v[0:1], v[20:21], v[206:207]
	v_mul_f64 v[4:5], v[18:19], v[206:207]
	v_add_f64 v[67:68], v[59:60], v[63:64]
	v_fma_f64 v[16:17], v[6:7], v[213:214], v[14:15]
	s_delay_alu instid0(VALU_DEP_4) | instskip(NEXT) | instid1(VALU_DEP_4)
	v_fma_f64 v[0:1], v[18:19], v[204:205], -v[0:1]
	v_fma_f64 v[4:5], v[20:21], v[204:205], v[4:5]
	ds_load_b128 v[18:21], v99 offset:4624
	s_waitcnt vmcnt(0) lgkmcnt(0)
	v_mul_f64 v[8:9], v[18:19], v[231:232]
	v_mul_f64 v[6:7], v[20:21], v[231:232]
	s_delay_alu instid0(VALU_DEP_2) | instskip(SKIP_1) | instid1(VALU_DEP_3)
	v_fma_f64 v[14:15], v[20:21], v[229:230], v[8:9]
	v_add_nc_u16 v8, v212, 0x44
	v_fma_f64 v[6:7], v[18:19], v[229:230], -v[6:7]
	ds_load_b128 v[18:21], v99 offset:2992
	v_and_b32_e32 v9, 0xff, v8
	s_delay_alu instid0(VALU_DEP_1) | instskip(NEXT) | instid1(VALU_DEP_1)
	v_mul_lo_u16 v9, 0xf1, v9
	v_lshrrev_b16 v9, 12, v9
	s_delay_alu instid0(VALU_DEP_1) | instskip(NEXT) | instid1(VALU_DEP_1)
	v_mul_lo_u16 v9, v9, 17
	v_sub_nc_u16 v38, v8, v9
	s_delay_alu instid0(VALU_DEP_1) | instskip(NEXT) | instid1(VALU_DEP_1)
	v_lshlrev_b16 v8, 1, v38
	v_and_b32_e32 v8, 0xfe, v8
	s_delay_alu instid0(VALU_DEP_1)
	v_lshlrev_b32_e32 v22, 4, v8
	s_clause 0x1
	global_load_b128 v[233:236], v22, s[0:1]
	global_load_b128 v[225:228], v22, s[0:1] offset:16
	ds_load_b128 v[22:25], v99 offset:4896
	s_waitcnt vmcnt(1) lgkmcnt(1)
	v_mul_f64 v[8:9], v[20:21], v[235:236]
	s_delay_alu instid0(VALU_DEP_1) | instskip(SKIP_1) | instid1(VALU_DEP_1)
	v_fma_f64 v[8:9], v[18:19], v[233:234], -v[8:9]
	v_mul_f64 v[18:19], v[18:19], v[235:236]
	v_fma_f64 v[18:19], v[20:21], v[233:234], v[18:19]
	s_waitcnt vmcnt(0) lgkmcnt(0)
	v_mul_f64 v[20:21], v[24:25], v[227:228]
	s_delay_alu instid0(VALU_DEP_1) | instskip(SKIP_1) | instid1(VALU_DEP_1)
	v_fma_f64 v[20:21], v[22:23], v[225:226], -v[20:21]
	v_mul_f64 v[22:23], v[22:23], v[227:228]
	v_fma_f64 v[24:25], v[24:25], v[225:226], v[22:23]
	v_add_nc_u16 v22, v212, 0x55
	s_delay_alu instid0(VALU_DEP_1) | instskip(NEXT) | instid1(VALU_DEP_1)
	v_and_b32_e32 v23, 0xff, v22
	v_mul_lo_u16 v23, 0xf1, v23
	s_delay_alu instid0(VALU_DEP_1) | instskip(NEXT) | instid1(VALU_DEP_1)
	v_lshrrev_b16 v23, 12, v23
	v_mul_lo_u16 v23, v23, 17
	s_delay_alu instid0(VALU_DEP_1) | instskip(NEXT) | instid1(VALU_DEP_1)
	v_sub_nc_u16 v39, v22, v23
	v_lshlrev_b16 v22, 1, v39
	s_delay_alu instid0(VALU_DEP_1) | instskip(NEXT) | instid1(VALU_DEP_1)
	v_and_b32_e32 v22, 0xfe, v22
	v_lshlrev_b32_e32 v30, 4, v22
	s_clause 0x1
	global_load_b128 v[221:224], v30, s[0:1]
	global_load_b128 v[196:199], v30, s[0:1] offset:16
	ds_load_b128 v[30:33], v99 offset:5168
	s_waitcnt vmcnt(1)
	v_mul_f64 v[22:23], v[28:29], v[223:224]
	s_delay_alu instid0(VALU_DEP_1) | instskip(SKIP_1) | instid1(VALU_DEP_1)
	v_fma_f64 v[22:23], v[26:27], v[221:222], -v[22:23]
	v_mul_f64 v[26:27], v[26:27], v[223:224]
	v_fma_f64 v[26:27], v[28:29], v[221:222], v[26:27]
	s_waitcnt vmcnt(0) lgkmcnt(0)
	v_mul_f64 v[28:29], v[32:33], v[198:199]
	s_delay_alu instid0(VALU_DEP_1) | instskip(SKIP_1) | instid1(VALU_DEP_1)
	v_fma_f64 v[28:29], v[30:31], v[196:197], -v[28:29]
	v_mul_f64 v[30:31], v[30:31], v[198:199]
	v_fma_f64 v[32:33], v[32:33], v[196:197], v[30:31]
	v_add_nc_u16 v30, v212, 0x66
	s_delay_alu instid0(VALU_DEP_1) | instskip(NEXT) | instid1(VALU_DEP_1)
	v_and_b32_e32 v31, 0xff, v30
	v_mul_lo_u16 v31, 0xf1, v31
	s_delay_alu instid0(VALU_DEP_1) | instskip(NEXT) | instid1(VALU_DEP_1)
	v_lshrrev_b16 v31, 12, v31
	v_mul_lo_u16 v31, v31, 17
	s_delay_alu instid0(VALU_DEP_1) | instskip(NEXT) | instid1(VALU_DEP_1)
	v_sub_nc_u16 v40, v30, v31
	v_lshlrev_b16 v30, 1, v40
	s_delay_alu instid0(VALU_DEP_1) | instskip(NEXT) | instid1(VALU_DEP_1)
	v_and_b32_e32 v30, 0xfe, v30
	v_lshlrev_b32_e32 v69, 4, v30
	s_clause 0x1
	global_load_b128 v[120:123], v69, s[0:1]
	global_load_b128 v[73:76], v69, s[0:1] offset:16
	s_waitcnt vmcnt(1)
	v_mul_f64 v[30:31], v[43:44], v[122:123]
	v_mul_f64 v[34:35], v[41:42], v[122:123]
	s_waitcnt vmcnt(0)
	scratch_store_b128 off, v[73:76], off offset:540 ; 16-byte Folded Spill
	v_fma_f64 v[30:31], v[41:42], v[120:121], -v[30:31]
	v_fma_f64 v[34:35], v[43:44], v[120:121], v[34:35]
	ds_load_b128 v[41:44], v99
	s_waitcnt lgkmcnt(0)
	v_fma_f64 v[55:56], v[55:56], -0.5, v[43:44]
	v_add_f64 v[43:44], v[43:44], v[47:48]
	v_fma_f64 v[53:54], v[53:54], -0.5, v[41:42]
	v_add_f64 v[41:42], v[41:42], v[45:46]
	v_add_f64 v[47:48], v[47:48], -v[51:52]
	s_delay_alu instid0(VALU_DEP_4) | instskip(SKIP_1) | instid1(VALU_DEP_4)
	v_add_f64 v[43:44], v[43:44], v[51:52]
	v_add_f64 v[51:52], v[45:46], -v[49:50]
	v_add_f64 v[41:42], v[41:42], v[49:50]
	s_delay_alu instid0(VALU_DEP_4) | instskip(SKIP_1) | instid1(VALU_DEP_4)
	v_fma_f64 v[45:46], v[47:48], s[2:3], v[53:54]
	v_fma_f64 v[49:50], v[47:48], s[8:9], v[53:54]
	;; [unrolled: 1-line block ×4, first 2 shown]
	ds_load_b128 v[53:56], v99 offset:272
	s_waitcnt lgkmcnt(0)
	v_fma_f64 v[67:68], v[67:68], -0.5, v[55:56]
	v_add_f64 v[55:56], v[55:56], v[59:60]
	v_fma_f64 v[65:66], v[65:66], -0.5, v[53:54]
	v_add_f64 v[53:54], v[53:54], v[57:58]
	v_add_f64 v[59:60], v[59:60], -v[63:64]
	s_delay_alu instid0(VALU_DEP_4) | instskip(SKIP_1) | instid1(VALU_DEP_4)
	v_add_f64 v[55:56], v[55:56], v[63:64]
	v_add_f64 v[63:64], v[57:58], -v[61:62]
	v_add_f64 v[53:54], v[53:54], v[61:62]
	s_delay_alu instid0(VALU_DEP_4) | instskip(SKIP_1) | instid1(VALU_DEP_4)
	v_fma_f64 v[57:58], v[59:60], s[2:3], v[65:66]
	v_fma_f64 v[61:62], v[59:60], s[8:9], v[65:66]
	;; [unrolled: 1-line block ×4, first 2 shown]
	ds_load_b128 v[65:68], v99 offset:5440
	s_waitcnt lgkmcnt(0)
	v_mul_f64 v[71:72], v[67:68], v[75:76]
	s_delay_alu instid0(VALU_DEP_1) | instskip(SKIP_1) | instid1(VALU_DEP_1)
	v_fma_f64 v[87:88], v[65:66], v[73:74], -v[71:72]
	v_mul_f64 v[65:66], v[65:66], v[75:76]
	v_fma_f64 v[89:90], v[67:68], v[73:74], v[65:66]
	ds_load_b128 v[65:68], v99 offset:1632
	ds_load_b128 v[71:74], v99 offset:544
	ds_load_b128 v[75:78], v99 offset:816
	ds_load_b128 v[79:82], v99 offset:1088
	ds_load_b128 v[83:86], v99 offset:1360
	s_waitcnt lgkmcnt(0)
	s_waitcnt_vscnt null, 0x0
	s_barrier
	buffer_gl0_inv
	ds_store_b128 v99, v[41:44]
	ds_store_b128 v99, v[53:56] offset:816
	ds_store_b128 v99, v[45:48] offset:272
	;; [unrolled: 1-line block ×5, first 2 shown]
	v_add_f64 v[41:42], v[2:3], v[10:11]
	v_add_f64 v[53:54], v[4:5], -v[14:15]
	v_add_f64 v[59:60], v[26:27], -v[32:33]
	v_add_f64 v[49:50], v[71:72], v[2:3]
	v_add_f64 v[2:3], v[2:3], -v[10:11]
	v_fma_f64 v[45:46], v[41:42], -0.5, v[71:72]
	v_add_f64 v[41:42], v[12:13], v[16:17]
	s_delay_alu instid0(VALU_DEP_1) | instskip(SKIP_2) | instid1(VALU_DEP_2)
	v_fma_f64 v[47:48], v[41:42], -0.5, v[73:74]
	v_add_f64 v[41:42], v[73:74], v[12:13]
	v_add_f64 v[12:13], v[12:13], -v[16:17]
	v_add_f64 v[43:44], v[41:42], v[16:17]
	v_add_f64 v[41:42], v[49:50], v[10:11]
	s_delay_alu instid0(VALU_DEP_3)
	v_fma_f64 v[10:11], v[12:13], s[2:3], v[45:46]
	v_fma_f64 v[45:46], v[12:13], s[8:9], v[45:46]
	;; [unrolled: 1-line block ×4, first 2 shown]
	v_add_f64 v[2:3], v[0:1], v[6:7]
	v_add_f64 v[49:50], v[75:76], v[0:1]
	v_add_f64 v[0:1], v[0:1], -v[6:7]
	s_delay_alu instid0(VALU_DEP_3) | instskip(SKIP_1) | instid1(VALU_DEP_1)
	v_fma_f64 v[16:17], v[2:3], -0.5, v[75:76]
	v_add_f64 v[2:3], v[4:5], v[14:15]
	v_fma_f64 v[51:52], v[2:3], -0.5, v[77:78]
	v_add_f64 v[2:3], v[77:78], v[4:5]
	s_delay_alu instid0(VALU_DEP_1)
	v_add_f64 v[4:5], v[2:3], v[14:15]
	v_add_f64 v[2:3], v[49:50], v[6:7]
	v_fma_f64 v[14:15], v[53:54], s[2:3], v[16:17]
	v_fma_f64 v[49:50], v[53:54], s[8:9], v[16:17]
	;; [unrolled: 1-line block ×4, first 2 shown]
	v_add_f64 v[0:1], v[8:9], v[20:21]
	v_add_f64 v[6:7], v[18:19], v[24:25]
	;; [unrolled: 1-line block ×3, first 2 shown]
	s_delay_alu instid0(VALU_DEP_3) | instskip(NEXT) | instid1(VALU_DEP_3)
	v_fma_f64 v[0:1], v[0:1], -0.5, v[79:80]
	v_fma_f64 v[57:58], v[6:7], -0.5, v[81:82]
	v_add_f64 v[6:7], v[81:82], v[18:19]
	v_add_f64 v[18:19], v[18:19], -v[24:25]
	v_add_f64 v[53:54], v[53:54], v[20:21]
	v_add_f64 v[20:21], v[8:9], -v[20:21]
	s_delay_alu instid0(VALU_DEP_4) | instskip(NEXT) | instid1(VALU_DEP_4)
	v_add_f64 v[55:56], v[6:7], v[24:25]
	v_fma_f64 v[6:7], v[18:19], s[2:3], v[0:1]
	v_fma_f64 v[18:19], v[18:19], s[8:9], v[0:1]
	v_add_f64 v[0:1], v[22:23], v[28:29]
	v_add_f64 v[24:25], v[26:27], v[32:33]
	v_fma_f64 v[8:9], v[20:21], s[8:9], v[57:58]
	v_fma_f64 v[20:21], v[20:21], s[2:3], v[57:58]
	v_add_f64 v[57:58], v[83:84], v[22:23]
	v_add_f64 v[22:23], v[22:23], -v[28:29]
	v_fma_f64 v[0:1], v[0:1], -0.5, v[83:84]
	v_fma_f64 v[63:64], v[24:25], -0.5, v[85:86]
	v_add_f64 v[24:25], v[85:86], v[26:27]
	s_delay_alu instid0(VALU_DEP_3) | instskip(NEXT) | instid1(VALU_DEP_2)
	v_fma_f64 v[61:62], v[59:60], s[8:9], v[0:1]
	v_add_f64 v[26:27], v[24:25], v[32:33]
	v_add_f64 v[24:25], v[57:58], v[28:29]
	v_fma_f64 v[57:58], v[59:60], s[2:3], v[0:1]
	v_add_f64 v[0:1], v[30:31], v[87:88]
	v_fma_f64 v[59:60], v[22:23], s[8:9], v[63:64]
	v_fma_f64 v[63:64], v[22:23], s[2:3], v[63:64]
	v_add_f64 v[22:23], v[34:35], v[89:90]
	v_add_f64 v[28:29], v[67:68], v[34:35]
	;; [unrolled: 1-line block ×3, first 2 shown]
	v_fma_f64 v[0:1], v[0:1], -0.5, v[65:66]
	v_add_f64 v[65:66], v[34:35], -v[89:90]
	v_fma_f64 v[22:23], v[22:23], -0.5, v[67:68]
	v_add_f64 v[67:68], v[30:31], -v[87:88]
	v_add_f64 v[34:35], v[28:29], v[89:90]
	v_add_f64 v[32:33], v[32:33], v[87:88]
	v_fma_f64 v[28:29], v[65:66], s[2:3], v[0:1]
	v_fma_f64 v[65:66], v[65:66], s[8:9], v[0:1]
	v_and_b32_e32 v0, 0xff, v36
	v_fma_f64 v[30:31], v[67:68], s[8:9], v[22:23]
	v_fma_f64 v[67:68], v[67:68], s[2:3], v[22:23]
	s_mov_b32 s2, 0x429ad128
	s_mov_b32 s3, 0x3febfeb5
	v_lshl_add_u32 v23, v0, 4, v91
	v_and_b32_e32 v0, 0xff, v37
	s_mov_b32 s8, 0x5476071b
	s_mov_b32 s9, 0x3fe77f67
	;; [unrolled: 1-line block ×3, first 2 shown]
	s_delay_alu instid0(VALU_DEP_1)
	v_lshl_add_u32 v22, v0, 4, v91
	v_and_b32_e32 v0, 0xff, v38
	ds_store_b128 v23, v[41:44] offset:1632
	ds_store_b128 v22, v[2:5] offset:2448
	v_lshl_add_u32 v2, v0, 4, v91
	v_and_b32_e32 v0, 0xff, v39
	s_delay_alu instid0(VALU_DEP_1)
	v_lshl_add_u32 v1, v0, 4, v91
	v_and_b32_e32 v0, 0xff, v40
	ds_store_b128 v2, v[53:56] offset:3264
	ds_store_b128 v1, v[24:27] offset:4080
	v_lshl_add_u32 v239, v0, 4, v91
	ds_store_b128 v239, v[32:35] offset:4896
	ds_store_b128 v23, v[10:13] offset:1904
	scratch_store_b32 off, v23, off offset:840 ; 4-byte Folded Spill
	ds_store_b128 v23, v[45:48] offset:2176
	ds_store_b128 v22, v[14:17] offset:2720
	scratch_store_b32 off, v22, off offset:816 ; 4-byte Folded Spill
	ds_store_b128 v22, v[49:52] offset:2992
	ds_store_b128 v2, v[6:9] offset:3536
	v_mad_u64_u32 v[48:49], null, 0x60, v212, s[0:1]
	scratch_store_b32 off, v2, off offset:808 ; 4-byte Folded Spill
	ds_store_b128 v2, v[18:21] offset:3808
	ds_store_b128 v1, v[57:60] offset:4352
	scratch_store_b32 off, v1, off offset:800 ; 4-byte Folded Spill
	ds_store_b128 v1, v[61:64] offset:4624
	ds_store_b128 v239, v[28:31] offset:5168
	;; [unrolled: 1-line block ×3, first 2 shown]
	s_waitcnt lgkmcnt(0)
	s_waitcnt_vscnt null, 0x0
	s_barrier
	buffer_gl0_inv
	s_clause 0x1
	global_load_b128 v[130:133], v[48:49], off offset:544
	global_load_b128 v[6:9], v[48:49], off offset:560
	ds_load_b128 v[0:3], v99 offset:816
	s_mov_b32 s0, 0x36b3c0b5
	s_mov_b32 s1, 0x3fac98ee
	s_clause 0x6
	global_load_b128 v[40:43], v[48:49], off offset:576
	global_load_b128 v[54:57], v[48:49], off offset:2224
	;; [unrolled: 1-line block ×7, first 2 shown]
	s_waitcnt vmcnt(8) lgkmcnt(0)
	v_mul_f64 v[4:5], v[2:3], v[132:133]
	s_waitcnt vmcnt(7)
	scratch_store_b128 off, v[6:9], off offset:784 ; 16-byte Folded Spill
	s_waitcnt vmcnt(6)
	scratch_store_b128 off, v[40:43], off offset:736 ; 16-byte Folded Spill
	;; [unrolled: 2-line block ×8, first 2 shown]
	v_fma_f64 v[50:51], v[0:1], v[130:131], -v[4:5]
	v_mul_f64 v[0:1], v[0:1], v[132:133]
	s_delay_alu instid0(VALU_DEP_1) | instskip(SKIP_3) | instid1(VALU_DEP_1)
	v_fma_f64 v[52:53], v[2:3], v[130:131], v[0:1]
	ds_load_b128 v[0:3], v99 offset:1632
	s_waitcnt lgkmcnt(0)
	v_mul_f64 v[4:5], v[2:3], v[8:9]
	v_fma_f64 v[66:67], v[0:1], v[6:7], -v[4:5]
	v_mul_f64 v[0:1], v[0:1], v[8:9]
	s_delay_alu instid0(VALU_DEP_1)
	v_fma_f64 v[68:69], v[2:3], v[6:7], v[0:1]
	global_load_b128 v[6:9], v[48:49], off offset:608
	ds_load_b128 v[0:3], v99 offset:4080
	s_waitcnt vmcnt(0) lgkmcnt(0)
	v_mul_f64 v[4:5], v[2:3], v[8:9]
	scratch_store_b128 off, v[6:9], off offset:636 ; 16-byte Folded Spill
	v_fma_f64 v[71:72], v[0:1], v[6:7], -v[4:5]
	v_mul_f64 v[0:1], v[0:1], v[8:9]
	s_delay_alu instid0(VALU_DEP_2) | instskip(NEXT) | instid1(VALU_DEP_2)
	v_add_f64 v[87:88], v[66:67], v[71:72]
	v_fma_f64 v[73:74], v[2:3], v[6:7], v[0:1]
	global_load_b128 v[6:9], v[48:49], off offset:624
	ds_load_b128 v[0:3], v99 offset:4896
	v_add_f64 v[66:67], v[66:67], -v[71:72]
	v_add_f64 v[95:96], v[68:69], v[73:74]
	v_add_f64 v[68:69], v[68:69], -v[73:74]
	s_waitcnt vmcnt(0) lgkmcnt(0)
	v_mul_f64 v[4:5], v[2:3], v[8:9]
	scratch_store_b128 off, v[6:9], off offset:620 ; 16-byte Folded Spill
	v_fma_f64 v[75:76], v[0:1], v[6:7], -v[4:5]
	v_mul_f64 v[0:1], v[0:1], v[8:9]
	s_delay_alu instid0(VALU_DEP_2) | instskip(NEXT) | instid1(VALU_DEP_2)
	v_add_f64 v[73:74], v[50:51], -v[75:76]
	v_fma_f64 v[77:78], v[2:3], v[6:7], v[0:1]
	global_load_b128 v[6:9], v[48:49], off offset:2176
	ds_load_b128 v[0:3], v99 offset:1088
	v_add_f64 v[93:94], v[52:53], v[77:78]
	v_add_f64 v[77:78], v[52:53], -v[77:78]
	s_delay_alu instid0(VALU_DEP_1)
	v_add_f64 v[148:149], v[68:69], -v[77:78]
	s_waitcnt vmcnt(0) lgkmcnt(0)
	v_mul_f64 v[4:5], v[2:3], v[8:9]
	scratch_store_b128 off, v[6:9], off offset:588 ; 16-byte Folded Spill
	v_fma_f64 v[16:17], v[0:1], v[6:7], -v[4:5]
	v_mul_f64 v[0:1], v[0:1], v[8:9]
	s_delay_alu instid0(VALU_DEP_1)
	v_fma_f64 v[18:19], v[2:3], v[6:7], v[0:1]
	global_load_b128 v[6:9], v[48:49], off offset:2192
	ds_load_b128 v[0:3], v99 offset:1904
	s_waitcnt vmcnt(0) lgkmcnt(0)
	v_mul_f64 v[4:5], v[2:3], v[8:9]
	scratch_store_b128 off, v[6:9], off offset:652 ; 16-byte Folded Spill
	v_fma_f64 v[24:25], v[0:1], v[6:7], -v[4:5]
	v_mul_f64 v[0:1], v[0:1], v[8:9]
	s_delay_alu instid0(VALU_DEP_1)
	v_fma_f64 v[26:27], v[2:3], v[6:7], v[0:1]
	global_load_b128 v[6:9], v[48:49], off offset:2240
	ds_load_b128 v[0:3], v99 offset:4352
	s_waitcnt vmcnt(0) lgkmcnt(0)
	v_mul_f64 v[4:5], v[2:3], v[8:9]
	scratch_store_b128 off, v[6:9], off offset:604 ; 16-byte Folded Spill
	v_fma_f64 v[32:33], v[0:1], v[6:7], -v[4:5]
	v_mul_f64 v[0:1], v[0:1], v[8:9]
	s_delay_alu instid0(VALU_DEP_2) | instskip(NEXT) | instid1(VALU_DEP_2)
	v_add_f64 v[108:109], v[24:25], v[32:33]
	v_fma_f64 v[34:35], v[2:3], v[6:7], v[0:1]
	global_load_b128 v[6:9], v[48:49], off offset:2256
	ds_load_b128 v[0:3], v99 offset:5168
	v_add_f64 v[24:25], v[24:25], -v[32:33]
	v_add_f64 v[116:117], v[26:27], v[34:35]
	v_add_f64 v[26:27], v[26:27], -v[34:35]
	s_waitcnt vmcnt(0) lgkmcnt(0)
	v_mul_f64 v[4:5], v[2:3], v[8:9]
	scratch_store_b128 off, v[6:9], off offset:768 ; 16-byte Folded Spill
	v_fma_f64 v[36:37], v[0:1], v[6:7], -v[4:5]
	v_mul_f64 v[0:1], v[0:1], v[8:9]
	global_load_b128 v[8:11], v[48:49], off offset:3808
	v_add_f64 v[106:107], v[16:17], v[36:37]
	v_fma_f64 v[38:39], v[2:3], v[6:7], v[0:1]
	ds_load_b128 v[4:7], v99 offset:1360
	v_add_f64 v[34:35], v[16:17], -v[36:37]
	v_add_f64 v[114:115], v[18:19], v[38:39]
	v_add_f64 v[38:39], v[18:19], -v[38:39]
	s_waitcnt vmcnt(0) lgkmcnt(0)
	v_mul_f64 v[0:1], v[6:7], v[10:11]
	scratch_store_b128 off, v[8:11], off offset:672 ; 16-byte Folded Spill
	v_fma_f64 v[2:3], v[4:5], v[8:9], -v[0:1]
	v_mul_f64 v[0:1], v[4:5], v[10:11]
	s_delay_alu instid0(VALU_DEP_1) | instskip(SKIP_3) | instid1(VALU_DEP_1)
	v_fma_f64 v[0:1], v[6:7], v[8:9], v[0:1]
	ds_load_b128 v[8:11], v99 offset:2176
	s_waitcnt lgkmcnt(0)
	v_mul_f64 v[4:5], v[10:11], v[14:15]
	v_fma_f64 v[6:7], v[8:9], v[12:13], -v[4:5]
	v_mul_f64 v[4:5], v[8:9], v[14:15]
	s_delay_alu instid0(VALU_DEP_1) | instskip(SKIP_3) | instid1(VALU_DEP_1)
	v_fma_f64 v[4:5], v[10:11], v[12:13], v[4:5]
	ds_load_b128 v[12:15], v99 offset:5440
	s_waitcnt lgkmcnt(0)
	v_mul_f64 v[8:9], v[14:15], v[22:23]
	v_fma_f64 v[10:11], v[12:13], v[20:21], -v[8:9]
	v_mul_f64 v[8:9], v[12:13], v[22:23]
	s_delay_alu instid0(VALU_DEP_2) | instskip(NEXT) | instid1(VALU_DEP_2)
	v_add_f64 v[126:127], v[2:3], v[10:11]
	v_fma_f64 v[8:9], v[14:15], v[20:21], v[8:9]
	ds_load_b128 v[20:23], v99 offset:4624
	v_add_f64 v[2:3], v[2:3], -v[10:11]
	s_waitcnt lgkmcnt(0)
	v_mul_f64 v[12:13], v[22:23], v[30:31]
	v_add_f64 v[140:141], v[0:1], v[8:9]
	v_add_f64 v[0:1], v[0:1], -v[8:9]
	s_delay_alu instid0(VALU_DEP_3) | instskip(SKIP_1) | instid1(VALU_DEP_2)
	v_fma_f64 v[14:15], v[20:21], v[28:29], -v[12:13]
	v_mul_f64 v[12:13], v[20:21], v[30:31]
	v_add_f64 v[128:129], v[6:7], v[14:15]
	s_delay_alu instid0(VALU_DEP_2)
	v_fma_f64 v[12:13], v[22:23], v[28:29], v[12:13]
	ds_load_b128 v[20:23], v99 offset:2448
	v_add_f64 v[6:7], v[6:7], -v[14:15]
	s_waitcnt lgkmcnt(0)
	v_mul_f64 v[28:29], v[22:23], v[42:43]
	v_add_f64 v[62:63], v[128:129], v[126:127]
	v_add_f64 v[142:143], v[4:5], v[12:13]
	v_add_f64 v[4:5], v[4:5], -v[12:13]
	v_add_f64 v[8:9], v[128:129], -v[126:127]
	v_fma_f64 v[79:80], v[20:21], v[40:41], -v[28:29]
	v_mul_f64 v[20:21], v[20:21], v[42:43]
	s_delay_alu instid0(VALU_DEP_1)
	v_fma_f64 v[81:82], v[22:23], v[40:41], v[20:21]
	global_load_b128 v[40:43], v[48:49], off offset:592
	ds_load_b128 v[20:23], v99 offset:3264
	s_waitcnt vmcnt(0) lgkmcnt(0)
	v_mul_f64 v[28:29], v[22:23], v[42:43]
	scratch_store_b128 off, v[40:43], off offset:752 ; 16-byte Folded Spill
	v_fma_f64 v[83:84], v[20:21], v[40:41], -v[28:29]
	v_mul_f64 v[20:21], v[20:21], v[42:43]
	s_delay_alu instid0(VALU_DEP_2) | instskip(NEXT) | instid1(VALU_DEP_2)
	v_add_f64 v[89:90], v[79:80], v[83:84]
	v_fma_f64 v[85:86], v[22:23], v[40:41], v[20:21]
	ds_load_b128 v[20:23], v99 offset:2720
	v_add_f64 v[71:72], v[83:84], -v[79:80]
	v_add_f64 v[83:84], v[95:96], -v[93:94]
	s_waitcnt lgkmcnt(0)
	v_mul_f64 v[28:29], v[22:23], v[46:47]
	v_add_f64 v[79:80], v[89:90], -v[87:88]
	v_add_f64 v[97:98], v[81:82], v[85:86]
	v_add_f64 v[52:53], v[71:72], -v[66:67]
	s_delay_alu instid0(VALU_DEP_4) | instskip(SKIP_1) | instid1(VALU_DEP_3)
	v_fma_f64 v[42:43], v[20:21], v[44:45], -v[28:29]
	v_mul_f64 v[20:21], v[20:21], v[46:47]
	v_mul_f64 v[152:153], v[52:53], s[14:15]
	s_delay_alu instid0(VALU_DEP_2) | instskip(SKIP_3) | instid1(VALU_DEP_1)
	v_fma_f64 v[40:41], v[22:23], v[44:45], v[20:21]
	ds_load_b128 v[20:23], v99 offset:3536
	s_waitcnt lgkmcnt(0)
	v_mul_f64 v[28:29], v[22:23], v[56:57]
	v_fma_f64 v[46:47], v[20:21], v[54:55], -v[28:29]
	v_mul_f64 v[20:21], v[20:21], v[56:57]
	ds_load_b128 v[28:31], v99 offset:2992
	v_add_f64 v[110:111], v[42:43], v[46:47]
	v_fma_f64 v[44:45], v[22:23], v[54:55], v[20:21]
	global_load_b128 v[54:57], v[48:49], off offset:3840
	v_add_f64 v[48:49], v[50:51], v[75:76]
	v_add_f64 v[75:76], v[85:86], -v[81:82]
	v_add_f64 v[50:51], v[71:72], v[66:67]
	v_add_f64 v[85:86], v[97:98], -v[95:96]
	v_add_f64 v[32:33], v[46:47], -v[42:43]
	v_add_f64 v[42:43], v[110:111], -v[108:109]
	v_add_f64 v[118:119], v[40:41], v[44:45]
	v_add_f64 v[36:37], v[44:45], -v[40:41]
	v_add_f64 v[81:82], v[87:88], -v[48:49]
	v_add_f64 v[40:41], v[108:109], -v[106:107]
	v_add_f64 v[150:151], v[50:51], v[73:74]
	v_mul_f64 v[50:51], v[79:80], s[0:1]
	v_mul_f64 v[52:53], v[85:86], s[0:1]
	v_add_f64 v[18:19], v[32:33], -v[24:25]
	v_add_f64 v[16:17], v[32:33], v[24:25]
	v_add_f64 v[44:45], v[116:117], -v[114:115]
	v_add_f64 v[46:47], v[118:119], -v[116:117]
	v_fma_f64 v[50:51], v[81:82], s[8:9], -v[50:51]
	v_fma_f64 v[52:53], v[83:84], s[8:9], -v[52:53]
	s_waitcnt vmcnt(0) lgkmcnt(0)
	v_mul_f64 v[20:21], v[30:31], v[56:57]
	scratch_store_b128 off, v[54:57], off offset:508 ; 16-byte Folded Spill
	v_fma_f64 v[22:23], v[28:29], v[54:55], -v[20:21]
	v_mul_f64 v[20:21], v[28:29], v[56:57]
	s_delay_alu instid0(VALU_DEP_1) | instskip(SKIP_3) | instid1(VALU_DEP_1)
	v_fma_f64 v[20:21], v[30:31], v[54:55], v[20:21]
	ds_load_b128 v[54:57], v99 offset:3808
	s_waitcnt lgkmcnt(0)
	v_mul_f64 v[28:29], v[56:57], v[60:61]
	v_fma_f64 v[30:31], v[54:55], v[58:59], -v[28:29]
	v_mul_f64 v[28:29], v[54:55], v[60:61]
	v_add_f64 v[54:55], v[87:88], v[48:49]
	v_add_f64 v[87:88], v[66:67], -v[73:74]
	v_add_f64 v[66:67], v[75:76], v[68:69]
	v_add_f64 v[48:49], v[48:49], -v[89:90]
	v_add_f64 v[136:137], v[22:23], v[30:31]
	v_fma_f64 v[28:29], v[56:57], v[58:59], v[28:29]
	v_add_f64 v[91:92], v[89:90], v[54:55]
	v_add_f64 v[54:55], v[95:96], v[93:94]
	;; [unrolled: 1-line block ×3, first 2 shown]
	v_add_f64 v[89:90], v[93:94], -v[97:98]
	v_add_f64 v[154:155], v[66:67], v[77:78]
	v_fma_f64 v[66:67], v[87:88], s[2:3], -v[152:153]
	v_add_f64 v[93:94], v[73:74], -v[71:72]
	v_mul_f64 v[71:72], v[87:88], s[2:3]
	v_mul_f64 v[73:74], v[148:149], s[2:3]
	;; [unrolled: 1-line block ×3, first 2 shown]
	v_add_f64 v[95:96], v[75:76], -v[68:69]
	v_add_f64 v[106:107], v[106:107], -v[110:111]
	;; [unrolled: 1-line block ×3, first 2 shown]
	v_add_f64 v[138:139], v[136:137], v[62:63]
	v_add_f64 v[10:11], v[28:29], -v[20:21]
	v_add_f64 v[144:145], v[20:21], v[28:29]
	v_add_f64 v[104:105], v[97:98], v[54:55]
	;; [unrolled: 1-line block ×4, first 2 shown]
	ds_load_b128 v[54:57], v99
	v_add_f64 v[97:98], v[77:78], -v[75:76]
	v_mul_f64 v[87:88], v[89:90], s[22:23]
	v_fma_f64 v[71:72], v[93:94], s[26:27], -v[71:72]
	v_fma_f64 v[68:69], v[150:151], s[16:17], v[66:67]
	v_fma_f64 v[75:76], v[81:82], s[24:25], -v[48:49]
	v_mul_f64 v[95:96], v[95:96], s[14:15]
	v_fma_f64 v[48:49], v[79:80], s[0:1], v[48:49]
	v_add_f64 v[89:90], v[26:27], -v[38:39]
	v_add_f64 v[110:111], v[34:35], -v[32:33]
	v_add_f64 v[62:63], v[142:143], v[140:141]
	v_add_f64 v[12:13], v[136:137], -v[128:129]
	v_add_f64 v[30:31], v[14:15], -v[6:7]
	;; [unrolled: 1-line block ×3, first 2 shown]
	v_add_f64 v[28:29], v[14:15], v[6:7]
	v_add_f64 v[6:7], v[6:7], -v[2:3]
	v_add_f64 v[14:15], v[2:3], -v[14:15]
	;; [unrolled: 1-line block ×3, first 2 shown]
	v_add_f64 v[124:125], v[118:119], v[58:59]
	ds_load_b128 v[58:61], v99 offset:272
	s_waitcnt lgkmcnt(1)
	v_add_f64 v[54:55], v[54:55], v[91:92]
	v_add_f64 v[56:57], v[56:57], v[104:105]
	v_fma_f64 v[73:74], v[97:98], s[26:27], -v[73:74]
	v_fma_f64 v[77:78], v[83:84], s[24:25], -v[87:88]
	v_fma_f64 v[81:82], v[150:151], s[16:17], v[71:72]
	v_fma_f64 v[79:80], v[85:86], s[0:1], v[87:88]
	v_fma_f64 v[66:67], v[148:149], s[2:3], -v[95:96]
	v_add_f64 v[146:147], v[144:145], v[62:63]
	ds_load_b128 v[62:65], v99 offset:544
	v_mul_f64 v[30:31], v[30:31], s[14:15]
	v_add_f64 v[28:29], v[28:29], v[2:3]
	s_waitcnt lgkmcnt(1)
	v_add_f64 v[58:59], v[58:59], v[112:113]
	s_waitcnt lgkmcnt(0)
	v_add_f64 v[62:63], v[62:63], v[138:139]
	v_add_f64 v[60:61], v[60:61], v[124:125]
	v_fma_f64 v[91:92], v[91:92], s[18:19], v[54:55]
	v_fma_f64 v[104:105], v[104:105], s[18:19], v[56:57]
	;; [unrolled: 1-line block ×4, first 2 shown]
	v_add_f64 v[64:65], v[64:65], v[146:147]
	v_add_f64 v[75:76], v[75:76], v[91:92]
	;; [unrolled: 1-line block ×7, first 2 shown]
	v_mul_f64 v[16:17], v[42:43], s[0:1]
	v_add_f64 v[158:159], v[52:53], v[104:105]
	v_fma_f64 v[104:105], v[124:125], s[18:19], v[60:61]
	v_add_f64 v[71:72], v[83:84], v[75:76]
	v_add_f64 v[73:74], v[77:78], -v[81:82]
	v_add_f64 v[75:76], v[75:76], -v[83:84]
	v_add_f64 v[77:78], v[81:82], v[77:78]
	v_fma_f64 v[81:82], v[93:94], s[20:21], v[152:153]
	v_fma_f64 v[83:84], v[97:98], s[20:21], v[95:96]
	v_mul_f64 v[95:96], v[18:19], s[14:15]
	v_mul_f64 v[18:19], v[46:47], s[0:1]
	v_fma_f64 v[16:17], v[40:41], s[8:9], -v[16:17]
	v_fma_f64 v[97:98], v[112:113], s[18:19], v[58:59]
	v_add_f64 v[50:51], v[156:157], -v[66:67]
	v_add_f64 v[52:53], v[68:69], v[158:159]
	v_add_f64 v[66:67], v[66:67], v[156:157]
	v_add_f64 v[68:69], v[158:159], -v[68:69]
	v_fma_f64 v[85:86], v[150:151], s[16:17], v[81:82]
	v_fma_f64 v[83:84], v[154:155], s[16:17], v[83:84]
	v_fma_f64 v[18:19], v[44:45], s[8:9], -v[18:19]
	v_add_f64 v[108:109], v[16:17], v[97:98]
	s_delay_alu instid0(VALU_DEP_4) | instskip(NEXT) | instid1(VALU_DEP_4)
	v_add_f64 v[81:82], v[87:88], -v[85:86]
	v_add_f64 v[79:80], v[83:84], v[48:49]
	v_add_f64 v[83:84], v[48:49], -v[83:84]
	v_add_f64 v[85:86], v[85:86], v[87:88]
	;; [unrolled: 2-line block ×4, first 2 shown]
	v_mul_f64 v[34:35], v[89:90], s[2:3]
	ds_store_b128 v99, v[54:57]
	ds_store_b128 v99, v[58:61] offset:272
	ds_store_b128 v99, v[62:65] offset:544
	;; [unrolled: 1-line block ×7, first 2 shown]
	v_mul_f64 v[32:33], v[48:49], s[2:3]
	v_add_f64 v[93:94], v[24:25], v[38:39]
	v_mul_f64 v[87:88], v[87:88], s[14:15]
	v_fma_f64 v[24:25], v[48:49], s[2:3], -v[95:96]
	v_mul_f64 v[48:49], v[106:107], s[22:23]
	v_fma_f64 v[32:33], v[110:111], s[26:27], -v[32:33]
	s_delay_alu instid0(VALU_DEP_3) | instskip(SKIP_1) | instid1(VALU_DEP_4)
	v_fma_f64 v[26:27], v[91:92], s[16:17], v[24:25]
	v_fma_f64 v[24:25], v[89:90], s[2:3], -v[87:88]
	v_fma_f64 v[42:43], v[42:43], s[0:1], v[48:49]
	s_delay_alu instid0(VALU_DEP_3) | instskip(NEXT) | instid1(VALU_DEP_3)
	v_add_f64 v[18:19], v[26:27], v[112:113]
	v_fma_f64 v[24:25], v[93:94], s[16:17], v[24:25]
	v_add_f64 v[26:27], v[112:113], -v[26:27]
	v_add_f64 v[112:113], v[38:39], -v[36:37]
	v_fma_f64 v[36:37], v[40:41], s[24:25], -v[48:49]
	v_fma_f64 v[40:41], v[91:92], s[16:17], v[32:33]
	v_add_f64 v[16:17], v[108:109], -v[24:25]
	v_add_f64 v[24:25], v[24:25], v[108:109]
	v_add_f64 v[108:109], v[114:115], -v[118:119]
	v_fma_f64 v[34:35], v[112:113], s[26:27], -v[34:35]
	v_add_f64 v[36:37], v[36:37], v[97:98]
	s_delay_alu instid0(VALU_DEP_3) | instskip(NEXT) | instid1(VALU_DEP_1)
	v_mul_f64 v[89:90], v[108:109], s[22:23]
	v_fma_f64 v[38:39], v[44:45], s[24:25], -v[89:90]
	s_delay_alu instid0(VALU_DEP_4) | instskip(SKIP_2) | instid1(VALU_DEP_4)
	v_fma_f64 v[44:45], v[93:94], s[16:17], v[34:35]
	v_fma_f64 v[46:47], v[46:47], s[0:1], v[89:90]
	v_mul_f64 v[89:90], v[12:13], s[0:1]
	v_add_f64 v[38:39], v[38:39], v[104:105]
	s_delay_alu instid0(VALU_DEP_4)
	v_add_f64 v[32:33], v[44:45], v[36:37]
	v_add_f64 v[36:37], v[36:37], -v[44:45]
	v_fma_f64 v[44:45], v[112:113], s[20:21], v[87:88]
	v_add_f64 v[87:88], v[42:43], v[97:98]
	v_add_f64 v[46:47], v[46:47], v[104:105]
	v_fma_f64 v[89:90], v[8:9], s[8:9], -v[89:90]
	v_fma_f64 v[97:98], v[6:7], s[2:3], -v[30:31]
	v_add_f64 v[34:35], v[38:39], -v[40:41]
	v_add_f64 v[38:39], v[40:41], v[38:39]
	v_fma_f64 v[40:41], v[110:111], s[20:21], v[95:96]
	v_fma_f64 v[44:45], v[93:94], s[16:17], v[44:45]
	;; [unrolled: 1-line block ×6, first 2 shown]
	v_add_f64 v[40:41], v[44:45], v[87:88]
	v_add_f64 v[44:45], v[87:88], -v[44:45]
	v_add_f64 v[87:88], v[10:11], -v[4:5]
	v_mul_f64 v[91:92], v[22:23], s[0:1]
	v_add_f64 v[89:90], v[89:90], v[93:94]
	v_add_f64 v[42:43], v[46:47], -v[48:49]
	v_add_f64 v[46:47], v[48:49], v[46:47]
	v_add_f64 v[48:49], v[10:11], v[4:5]
	v_add_f64 v[4:5], v[4:5], -v[0:1]
	v_mul_f64 v[87:88], v[87:88], s[14:15]
	v_fma_f64 v[91:92], v[20:21], s[8:9], -v[91:92]
	v_add_f64 v[10:11], v[0:1], -v[10:11]
	v_add_f64 v[48:49], v[48:49], v[0:1]
	v_mul_f64 v[2:3], v[4:5], s[2:3]
	v_fma_f64 v[104:105], v[4:5], s[2:3], -v[87:88]
	v_add_f64 v[91:92], v[91:92], v[95:96]
	v_mul_f64 v[0:1], v[6:7], s[2:3]
	s_add_u32 s2, s12, 0x1650
	s_addc_u32 s3, s13, 0
	s_delay_alu instid0(VALU_DEP_4) | instskip(NEXT) | instid1(VALU_DEP_4)
	v_fma_f64 v[2:3], v[10:11], s[26:27], -v[2:3]
	v_fma_f64 v[104:105], v[48:49], s[16:17], v[104:105]
	s_delay_alu instid0(VALU_DEP_4)
	v_add_f64 v[246:247], v[97:98], v[91:92]
	v_add_f64 v[242:243], v[91:92], -v[97:98]
	v_add_f64 v[91:92], v[140:141], -v[144:145]
	v_fma_f64 v[0:1], v[14:15], s[26:27], -v[0:1]
	v_fma_f64 v[10:11], v[10:11], s[20:21], v[87:88]
	v_add_f64 v[244:245], v[89:90], -v[104:105]
	v_add_f64 v[240:241], v[104:105], v[89:90]
	v_add_f64 v[89:90], v[126:127], -v[136:137]
	v_mul_f64 v[6:7], v[91:92], s[22:23]
	v_fma_f64 v[91:92], v[48:49], s[16:17], v[2:3]
	v_fma_f64 v[10:11], v[48:49], s[16:17], v[10:11]
	s_delay_alu instid0(VALU_DEP_4) | instskip(NEXT) | instid1(VALU_DEP_4)
	v_mul_f64 v[4:5], v[89:90], s[22:23]
	v_fma_f64 v[20:21], v[20:21], s[24:25], -v[6:7]
	v_fma_f64 v[89:90], v[28:29], s[16:17], v[0:1]
	v_fma_f64 v[6:7], v[22:23], s[0:1], v[6:7]
	s_delay_alu instid0(VALU_DEP_4) | instskip(SKIP_2) | instid1(VALU_DEP_3)
	v_fma_f64 v[8:9], v[8:9], s[24:25], -v[4:5]
	v_fma_f64 v[4:5], v[12:13], s[0:1], v[4:5]
	v_add_f64 v[20:21], v[20:21], v[95:96]
	v_add_f64 v[8:9], v[8:9], v[93:94]
	s_delay_alu instid0(VALU_DEP_3) | instskip(NEXT) | instid1(VALU_DEP_3)
	v_add_f64 v[12:13], v[4:5], v[93:94]
	v_add_f64 v[250:251], v[89:90], v[20:21]
	v_add_f64 v[2:3], v[20:21], -v[89:90]
	s_delay_alu instid0(VALU_DEP_4)
	v_add_f64 v[0:1], v[91:92], v[8:9]
	v_add_f64 v[248:249], v[8:9], -v[91:92]
	v_fma_f64 v[8:9], v[14:15], s[20:21], v[30:31]
	v_add_f64 v[14:15], v[6:7], v[95:96]
	v_add_f64 v[4:5], v[10:11], v[12:13]
	v_add_f64 v[252:253], v[12:13], -v[10:11]
	s_delay_alu instid0(VALU_DEP_4) | instskip(NEXT) | instid1(VALU_DEP_1)
	v_fma_f64 v[8:9], v[28:29], s[16:17], v[8:9]
	v_add_f64 v[6:7], v[14:15], -v[8:9]
	v_add_f64 v[254:255], v[8:9], v[14:15]
	ds_store_b128 v209, v[40:43] offset:1088
	ds_store_b128 v99, v[79:82] offset:816
	;; [unrolled: 1-line block ×13, first 2 shown]
	s_waitcnt lgkmcnt(0)
	s_waitcnt_vscnt null, 0x0
	s_barrier
	buffer_gl0_inv
	global_load_b128 v[0:3], v70, s[2:3]
	ds_load_b128 v[4:7], v99
	ds_load_b128 v[16:19], v99 offset:672
	ds_load_b128 v[24:27], v99 offset:1344
	;; [unrolled: 1-line block ×14, first 2 shown]
	s_waitcnt vmcnt(0) lgkmcnt(14)
	v_mul_f64 v[8:9], v[6:7], v[2:3]
	v_mul_f64 v[10:11], v[4:5], v[2:3]
	s_delay_alu instid0(VALU_DEP_2) | instskip(NEXT) | instid1(VALU_DEP_2)
	v_fma_f64 v[2:3], v[4:5], v[0:1], -v[8:9]
	v_fma_f64 v[4:5], v[6:7], v[0:1], v[10:11]
	global_load_b128 v[6:9], v70, s[2:3] offset:336
	ds_load_b128 v[10:13], v99 offset:336
	s_waitcnt vmcnt(0) lgkmcnt(0)
	v_mul_f64 v[0:1], v[12:13], v[8:9]
	v_mul_f64 v[14:15], v[10:11], v[8:9]
	s_delay_alu instid0(VALU_DEP_2) | instskip(NEXT) | instid1(VALU_DEP_2)
	v_fma_f64 v[8:9], v[10:11], v[6:7], -v[0:1]
	v_fma_f64 v[10:11], v[12:13], v[6:7], v[14:15]
	global_load_b128 v[12:15], v70, s[2:3] offset:672
	s_waitcnt vmcnt(0)
	v_mul_f64 v[0:1], v[18:19], v[14:15]
	v_mul_f64 v[6:7], v[16:17], v[14:15]
	s_delay_alu instid0(VALU_DEP_2) | instskip(NEXT) | instid1(VALU_DEP_2)
	v_fma_f64 v[16:17], v[16:17], v[12:13], -v[0:1]
	v_fma_f64 v[18:19], v[18:19], v[12:13], v[6:7]
	global_load_b128 v[12:15], v70, s[2:3] offset:1008
	s_waitcnt vmcnt(0)
	;; [unrolled: 7-line block ×11, first 2 shown]
	v_mul_f64 v[0:1], v[58:59], v[14:15]
	v_mul_f64 v[6:7], v[56:57], v[14:15]
	v_add_co_u32 v14, s0, s2, v70
	s_delay_alu instid0(VALU_DEP_1) | instskip(SKIP_4) | instid1(VALU_DEP_1)
	v_add_co_ci_u32_e64 v15, null, s3, 0, s0
	ds_load_b128 v[70:73], v99 offset:4704
	v_fma_f64 v[56:57], v[56:57], v[12:13], -v[0:1]
	v_fma_f64 v[58:59], v[58:59], v[12:13], v[6:7]
	v_add_co_u32 v12, s0, 0x1000, v14
	v_add_co_ci_u32_e64 v13, s0, 0, v15, s0
	global_load_b128 v[60:63], v[12:13], off offset:272
	s_waitcnt vmcnt(0)
	v_mul_f64 v[0:1], v[66:67], v[62:63]
	v_mul_f64 v[6:7], v[64:65], v[62:63]
	s_delay_alu instid0(VALU_DEP_2) | instskip(NEXT) | instid1(VALU_DEP_2)
	v_fma_f64 v[62:63], v[64:65], v[60:61], -v[0:1]
	v_fma_f64 v[64:65], v[66:67], v[60:61], v[6:7]
	global_load_b128 v[66:69], v[12:13], off offset:608
	s_waitcnt vmcnt(0) lgkmcnt(0)
	v_mul_f64 v[0:1], v[72:73], v[68:69]
	v_mul_f64 v[6:7], v[70:71], v[68:69]
	s_delay_alu instid0(VALU_DEP_2) | instskip(NEXT) | instid1(VALU_DEP_2)
	v_fma_f64 v[68:69], v[70:71], v[66:67], -v[0:1]
	v_fma_f64 v[70:71], v[72:73], v[66:67], v[6:7]
	global_load_b128 v[72:75], v[12:13], off offset:944
	s_waitcnt vmcnt(0)
	v_mul_f64 v[0:1], v[78:79], v[74:75]
	v_mul_f64 v[6:7], v[76:77], v[74:75]
	s_delay_alu instid0(VALU_DEP_2) | instskip(NEXT) | instid1(VALU_DEP_2)
	v_fma_f64 v[74:75], v[76:77], v[72:73], -v[0:1]
	v_fma_f64 v[76:77], v[78:79], v[72:73], v[6:7]
	global_load_b128 v[78:81], v[12:13], off offset:1280
	s_waitcnt vmcnt(0)
	v_mul_f64 v[0:1], v[84:85], v[80:81]
	v_mul_f64 v[6:7], v[82:83], v[80:81]
	s_delay_alu instid0(VALU_DEP_2) | instskip(NEXT) | instid1(VALU_DEP_2)
	v_fma_f64 v[80:81], v[82:83], v[78:79], -v[0:1]
	v_fma_f64 v[82:83], v[84:85], v[78:79], v[6:7]
	ds_store_b128 v99, v[2:5]
	ds_store_b128 v99, v[8:11] offset:336
	ds_store_b128 v99, v[16:19] offset:672
	;; [unrolled: 1-line block ×16, first 2 shown]
	s_and_saveexec_b32 s0, vcc_lo
	s_cbranch_execz .LBB0_9
; %bb.8:
	s_clause 0x7
	global_load_b128 v[0:3], v[14:15], off offset:272
	global_load_b128 v[4:7], v[14:15], off offset:608
	;; [unrolled: 1-line block ×8, first 2 shown]
	ds_load_b128 v[36:39], v99 offset:272
	ds_load_b128 v[40:43], v99 offset:608
	;; [unrolled: 1-line block ×6, first 2 shown]
	s_waitcnt vmcnt(7) lgkmcnt(5)
	v_mul_f64 v[48:49], v[38:39], v[2:3]
	v_mul_f64 v[2:3], v[36:37], v[2:3]
	s_waitcnt vmcnt(6) lgkmcnt(4)
	v_mul_f64 v[52:53], v[42:43], v[6:7]
	v_mul_f64 v[6:7], v[40:41], v[6:7]
	s_delay_alu instid0(VALU_DEP_4)
	v_fma_f64 v[36:37], v[36:37], v[0:1], -v[48:49]
	ds_load_b128 v[48:51], v99 offset:1280
	v_fma_f64 v[38:39], v[38:39], v[0:1], v[2:3]
	global_load_b128 v[0:3], v[14:15], off offset:2960
	v_fma_f64 v[40:41], v[40:41], v[4:5], -v[52:53]
	v_fma_f64 v[42:43], v[42:43], v[4:5], v[6:7]
	s_waitcnt vmcnt(6) lgkmcnt(4)
	v_mul_f64 v[4:5], v[46:47], v[10:11]
	v_mul_f64 v[6:7], v[44:45], v[10:11]
	s_waitcnt vmcnt(5) lgkmcnt(0)
	v_mul_f64 v[52:53], v[50:51], v[18:19]
	v_mul_f64 v[18:19], v[48:49], v[18:19]
	s_delay_alu instid0(VALU_DEP_4) | instskip(NEXT) | instid1(VALU_DEP_4)
	v_fma_f64 v[4:5], v[44:45], v[8:9], -v[4:5]
	v_fma_f64 v[6:7], v[46:47], v[8:9], v[6:7]
	global_load_b128 v[8:11], v[14:15], off offset:3296
	ds_load_b128 v[44:47], v99 offset:1616
	v_fma_f64 v[48:49], v[48:49], v[16:17], -v[52:53]
	v_fma_f64 v[50:51], v[50:51], v[16:17], v[18:19]
	global_load_b128 v[16:19], v[14:15], off offset:3632
	s_waitcnt vmcnt(6) lgkmcnt(0)
	v_mul_f64 v[52:53], v[46:47], v[22:23]
	v_mul_f64 v[22:23], v[44:45], v[22:23]
	s_delay_alu instid0(VALU_DEP_2) | instskip(NEXT) | instid1(VALU_DEP_2)
	v_fma_f64 v[44:45], v[44:45], v[20:21], -v[52:53]
	v_fma_f64 v[46:47], v[46:47], v[20:21], v[22:23]
	ds_load_b128 v[20:23], v99 offset:1952
	s_waitcnt vmcnt(5) lgkmcnt(0)
	v_mul_f64 v[52:53], v[22:23], v[26:27]
	v_mul_f64 v[26:27], v[20:21], v[26:27]
	s_delay_alu instid0(VALU_DEP_2) | instskip(NEXT) | instid1(VALU_DEP_2)
	v_fma_f64 v[20:21], v[20:21], v[24:25], -v[52:53]
	v_fma_f64 v[22:23], v[22:23], v[24:25], v[26:27]
	ds_load_b128 v[24:27], v99 offset:2288
	s_waitcnt vmcnt(4) lgkmcnt(0)
	v_mul_f64 v[52:53], v[26:27], v[30:31]
	v_mul_f64 v[30:31], v[24:25], v[30:31]
	s_delay_alu instid0(VALU_DEP_2) | instskip(NEXT) | instid1(VALU_DEP_2)
	v_fma_f64 v[24:25], v[24:25], v[28:29], -v[52:53]
	v_fma_f64 v[26:27], v[26:27], v[28:29], v[30:31]
	ds_load_b128 v[28:31], v99 offset:2624
	s_waitcnt vmcnt(3) lgkmcnt(0)
	v_mul_f64 v[52:53], v[30:31], v[34:35]
	v_mul_f64 v[34:35], v[28:29], v[34:35]
	s_delay_alu instid0(VALU_DEP_2) | instskip(NEXT) | instid1(VALU_DEP_2)
	v_fma_f64 v[28:29], v[28:29], v[32:33], -v[52:53]
	v_fma_f64 v[30:31], v[30:31], v[32:33], v[34:35]
	ds_load_b128 v[32:35], v99 offset:2960
	s_waitcnt vmcnt(2) lgkmcnt(0)
	v_mul_f64 v[52:53], v[34:35], v[2:3]
	v_mul_f64 v[2:3], v[32:33], v[2:3]
	s_delay_alu instid0(VALU_DEP_2) | instskip(NEXT) | instid1(VALU_DEP_2)
	v_fma_f64 v[32:33], v[32:33], v[0:1], -v[52:53]
	v_fma_f64 v[34:35], v[34:35], v[0:1], v[2:3]
	ds_load_b128 v[0:3], v99 offset:3296
	s_waitcnt vmcnt(1) lgkmcnt(0)
	v_mul_f64 v[52:53], v[2:3], v[10:11]
	v_mul_f64 v[10:11], v[0:1], v[10:11]
	s_delay_alu instid0(VALU_DEP_2) | instskip(NEXT) | instid1(VALU_DEP_2)
	v_fma_f64 v[0:1], v[0:1], v[8:9], -v[52:53]
	v_fma_f64 v[2:3], v[2:3], v[8:9], v[10:11]
	ds_load_b128 v[8:11], v99 offset:3632
	s_waitcnt vmcnt(0) lgkmcnt(0)
	v_mul_f64 v[52:53], v[10:11], v[18:19]
	v_mul_f64 v[18:19], v[8:9], v[18:19]
	s_delay_alu instid0(VALU_DEP_2) | instskip(NEXT) | instid1(VALU_DEP_2)
	v_fma_f64 v[8:9], v[8:9], v[16:17], -v[52:53]
	v_fma_f64 v[10:11], v[10:11], v[16:17], v[18:19]
	global_load_b128 v[14:17], v[14:15], off offset:3968
	ds_load_b128 v[52:55], v99 offset:3968
	s_waitcnt vmcnt(0) lgkmcnt(0)
	v_mul_f64 v[18:19], v[54:55], v[16:17]
	v_mul_f64 v[56:57], v[52:53], v[16:17]
	s_delay_alu instid0(VALU_DEP_2) | instskip(NEXT) | instid1(VALU_DEP_2)
	v_fma_f64 v[16:17], v[52:53], v[14:15], -v[18:19]
	v_fma_f64 v[18:19], v[54:55], v[14:15], v[56:57]
	global_load_b128 v[52:55], v[12:13], off offset:208
	ds_load_b128 v[56:59], v99 offset:4304
	s_waitcnt vmcnt(0) lgkmcnt(0)
	v_mul_f64 v[14:15], v[58:59], v[54:55]
	v_mul_f64 v[60:61], v[56:57], v[54:55]
	s_delay_alu instid0(VALU_DEP_2) | instskip(NEXT) | instid1(VALU_DEP_2)
	v_fma_f64 v[54:55], v[56:57], v[52:53], -v[14:15]
	v_fma_f64 v[56:57], v[58:59], v[52:53], v[60:61]
	global_load_b128 v[58:61], v[12:13], off offset:544
	s_waitcnt vmcnt(0)
	v_mul_f64 v[14:15], v[64:65], v[60:61]
	v_mul_f64 v[52:53], v[62:63], v[60:61]
	s_delay_alu instid0(VALU_DEP_2) | instskip(NEXT) | instid1(VALU_DEP_2)
	v_fma_f64 v[60:61], v[62:63], v[58:59], -v[14:15]
	v_fma_f64 v[62:63], v[64:65], v[58:59], v[52:53]
	global_load_b128 v[64:67], v[12:13], off offset:880
	s_waitcnt vmcnt(0)
	v_mul_f64 v[14:15], v[70:71], v[66:67]
	v_mul_f64 v[52:53], v[68:69], v[66:67]
	s_delay_alu instid0(VALU_DEP_2) | instskip(SKIP_1) | instid1(VALU_DEP_3)
	v_fma_f64 v[66:67], v[68:69], v[64:65], -v[14:15]
	v_lshl_or_b32 v14, v212, 4, 0x14c0
	v_fma_f64 v[68:69], v[70:71], v[64:65], v[52:53]
	global_load_b128 v[70:73], v14, s[2:3]
	s_waitcnt vmcnt(0)
	v_mul_f64 v[14:15], v[76:77], v[72:73]
	v_mul_f64 v[52:53], v[74:75], v[72:73]
	s_delay_alu instid0(VALU_DEP_2)
	v_fma_f64 v[72:73], v[74:75], v[70:71], -v[14:15]
	global_load_b128 v[12:15], v[12:13], off offset:1552
	v_fma_f64 v[74:75], v[76:77], v[70:71], v[52:53]
	ds_load_b128 v[76:79], v99 offset:5648
	s_waitcnt vmcnt(0) lgkmcnt(0)
	v_mul_f64 v[52:53], v[78:79], v[14:15]
	v_mul_f64 v[14:15], v[76:77], v[14:15]
	s_delay_alu instid0(VALU_DEP_2) | instskip(NEXT) | instid1(VALU_DEP_2)
	v_fma_f64 v[76:77], v[76:77], v[12:13], -v[52:53]
	v_fma_f64 v[78:79], v[78:79], v[12:13], v[14:15]
	ds_store_b128 v99, v[36:39] offset:272
	ds_store_b128 v99, v[40:43] offset:608
	;; [unrolled: 1-line block ×17, first 2 shown]
.LBB0_9:
	s_or_b32 exec_lo, exec_lo, s0
	s_waitcnt lgkmcnt(0)
	s_barrier
	buffer_gl0_inv
	ds_load_b128 v[0:3], v99
	ds_load_b128 v[4:7], v99 offset:336
	ds_load_b128 v[8:11], v99 offset:672
	;; [unrolled: 1-line block ×16, first 2 shown]
	s_and_saveexec_b32 s0, vcc_lo
	s_cbranch_execz .LBB0_11
; %bb.10:
	v_lshl_add_u32 v68, v212, 4, v238
	ds_load_b128 v[240:243], v68 offset:608
	ds_load_b128 v[248:251], v68 offset:944
	;; [unrolled: 1-line block ×5, first 2 shown]
	s_waitcnt lgkmcnt(1)
	scratch_store_b128 off, v[69:72], off offset:52 ; 16-byte Folded Spill
	ds_load_b128 v[69:72], v68 offset:1952
	s_waitcnt lgkmcnt(0)
	scratch_store_b128 off, v[69:72], off offset:84 ; 16-byte Folded Spill
	ds_load_b128 v[69:72], v68 offset:2288
	;; [unrolled: 3-line block ×12, first 2 shown]
	s_waitcnt lgkmcnt(0)
	scratch_store_b128 off, v[68:71], off offset:4 ; 16-byte Folded Spill
.LBB0_11:
	s_or_b32 exec_lo, exec_lo, s0
	s_waitcnt lgkmcnt(15)
	v_add_f64 v[68:69], v[0:1], v[4:5]
	v_add_f64 v[70:71], v[2:3], v[6:7]
	s_waitcnt lgkmcnt(4)
	v_add_f64 v[87:88], v[34:35], v[42:43]
	v_add_f64 v[97:98], v[34:35], -v[42:43]
	s_waitcnt lgkmcnt(3)
	v_add_f64 v[138:139], v[26:27], v[38:39]
	v_add_f64 v[152:153], v[26:27], -v[38:39]
	;; [unrolled: 3-line block ×4, first 2 shown]
	s_mov_b32 s24, 0x5d8e7cdc
	s_mov_b32 s56, 0x2a9d6da3
	s_mov_b32 s25, 0xbfd71e95
	s_mov_b32 s57, 0xbfe58eea
	s_mov_b32 s30, 0x7c9e640b
	s_mov_b32 s42, 0xeb564b22
	s_mov_b32 s54, 0x923c349f
	s_mov_b32 s26, 0x6c9a05f6
	s_mov_b32 s34, 0x4363dd80
	s_mov_b32 s28, 0xacd6c6b4
	s_mov_b32 s22, 0x370991
	s_mov_b32 s20, 0x75d4884
	s_mov_b32 s18, 0x2b2883cd
	s_mov_b32 s14, 0xc61f0d01
	s_mov_b32 s31, 0xbfeca52d
	s_mov_b32 s43, 0xbfefdd0d
	s_mov_b32 s55, 0xbfeec746
	s_mov_b32 s27, 0xbfe9895b
	s_mov_b32 s35, 0xbfe0d888
	s_mov_b32 s29, 0xbfc7851a
	s_mov_b32 s23, 0x3fedd6d0
	s_mov_b32 s21, 0x3fe7a5f6
	s_mov_b32 s19, 0x3fdc86fa
	s_mov_b32 s15, 0xbfd183b1
	s_mov_b32 s16, 0x3259b75e
	s_mov_b32 s8, 0x6ed5f1bb
	s_mov_b32 s2, 0x910ea3b9
	s_mov_b32 s0, 0x7faef3
	v_add_f64 v[68:69], v[68:69], v[8:9]
	v_add_f64 v[70:71], v[70:71], v[10:11]
	s_mov_b32 s17, 0x3fb79ee6
	s_mov_b32 s9, 0xbfe348c8
	;; [unrolled: 1-line block ×19, first 2 shown]
	s_waitcnt lgkmcnt(0)
	s_waitcnt_vscnt null, 0x0
	s_barrier
	buffer_gl0_inv
	v_add_f64 v[68:69], v[68:69], v[16:17]
	v_add_f64 v[70:71], v[70:71], v[18:19]
	s_delay_alu instid0(VALU_DEP_2) | instskip(NEXT) | instid1(VALU_DEP_2)
	v_add_f64 v[68:69], v[68:69], v[24:25]
	v_add_f64 v[70:71], v[70:71], v[26:27]
	s_delay_alu instid0(VALU_DEP_2) | instskip(NEXT) | instid1(VALU_DEP_2)
	v_add_f64 v[68:69], v[68:69], v[32:33]
	v_add_f64 v[70:71], v[70:71], v[34:35]
	;; [unrolled: 1-line block ×3, first 2 shown]
	s_delay_alu instid0(VALU_DEP_3) | instskip(NEXT) | instid1(VALU_DEP_3)
	v_add_f64 v[68:69], v[68:69], v[44:45]
	v_add_f64 v[70:71], v[70:71], v[46:47]
	s_delay_alu instid0(VALU_DEP_2) | instskip(NEXT) | instid1(VALU_DEP_2)
	v_add_f64 v[68:69], v[68:69], v[52:53]
	v_add_f64 v[70:71], v[70:71], v[54:55]
	s_delay_alu instid0(VALU_DEP_2) | instskip(NEXT) | instid1(VALU_DEP_2)
	v_add_f64 v[73:74], v[68:69], v[64:65]
	v_add_f64 v[77:78], v[70:71], v[66:67]
	;; [unrolled: 1-line block ×3, first 2 shown]
	v_add_f64 v[64:65], v[64:65], -v[60:61]
	v_add_f64 v[68:69], v[66:67], v[62:63]
	v_add_f64 v[66:67], v[66:67], -v[62:63]
	v_add_f64 v[75:76], v[73:74], v[60:61]
	v_add_f64 v[77:78], v[77:78], v[62:63]
	;; [unrolled: 1-line block ×3, first 2 shown]
	v_add_f64 v[52:53], v[52:53], -v[56:57]
	v_add_f64 v[62:63], v[54:55], v[58:59]
	v_add_f64 v[73:74], v[54:55], -v[58:59]
	v_add_f64 v[54:55], v[44:45], v[48:49]
	v_add_f64 v[44:45], v[44:45], -v[48:49]
	v_mul_f64 v[166:167], v[66:67], s[28:29]
	v_mul_f64 v[190:191], v[66:67], s[46:47]
	;; [unrolled: 1-line block ×3, first 2 shown]
	v_add_f64 v[56:57], v[75:76], v[56:57]
	v_add_f64 v[77:78], v[77:78], v[58:59]
	;; [unrolled: 1-line block ×3, first 2 shown]
	v_add_f64 v[75:76], v[46:47], -v[50:51]
	v_add_f64 v[46:47], v[32:33], v[40:41]
	v_add_f64 v[32:33], v[32:33], -v[40:41]
	v_mul_f64 v[186:187], v[73:74], s[52:53]
	v_mul_f64 v[188:189], v[62:63], s[18:19]
	v_add_f64 v[48:49], v[56:57], v[48:49]
	v_add_f64 v[50:51], v[77:78], v[50:51]
	v_mul_f64 v[184:185], v[58:59], s[14:15]
	s_delay_alu instid0(VALU_DEP_3) | instskip(NEXT) | instid1(VALU_DEP_3)
	v_add_f64 v[48:49], v[48:49], v[40:41]
	v_add_f64 v[42:43], v[50:51], v[42:43]
	v_add_f64 v[40:41], v[24:25], -v[36:37]
	s_delay_alu instid0(VALU_DEP_3) | instskip(NEXT) | instid1(VALU_DEP_3)
	v_add_f64 v[24:25], v[48:49], v[36:37]
	v_add_f64 v[26:27], v[42:43], v[38:39]
	;; [unrolled: 1-line block ×3, first 2 shown]
	v_add_f64 v[38:39], v[16:17], -v[28:29]
	v_add_f64 v[42:43], v[8:9], v[20:21]
	v_add_f64 v[48:49], v[8:9], -v[20:21]
	v_add_f64 v[16:17], v[24:25], v[28:29]
	v_add_f64 v[18:19], v[26:27], v[30:31]
	s_delay_alu instid0(VALU_DEP_2) | instskip(NEXT) | instid1(VALU_DEP_2)
	v_add_f64 v[8:9], v[16:17], v[20:21]
	v_add_f64 v[10:11], v[18:19], v[22:23]
	v_add_f64 v[16:17], v[6:7], -v[14:15]
	v_add_f64 v[18:19], v[4:5], v[12:13]
	v_add_f64 v[20:21], v[6:7], v[14:15]
	v_add_f64 v[22:23], v[4:5], -v[12:13]
	v_add_f64 v[4:5], v[8:9], v[12:13]
	v_add_f64 v[6:7], v[10:11], v[14:15]
	v_mul_f64 v[8:9], v[16:17], s[24:25]
	v_mul_f64 v[10:11], v[16:17], s[56:57]
	;; [unrolled: 1-line block ×14, first 2 shown]
	v_fma_f64 v[30:31], v[18:19], s[22:23], v[8:9]
	v_fma_f64 v[8:9], v[18:19], s[22:23], -v[8:9]
	v_fma_f64 v[77:78], v[18:19], s[20:21], v[10:11]
	v_fma_f64 v[10:11], v[18:19], s[20:21], -v[10:11]
	;; [unrolled: 2-line block ×8, first 2 shown]
	v_mul_f64 v[18:19], v[20:21], s[22:23]
	v_mul_f64 v[20:21], v[20:21], s[0:1]
	v_fma_f64 v[110:111], v[22:23], s[38:39], v[50:51]
	v_fma_f64 v[112:113], v[22:23], s[56:57], v[50:51]
	v_fma_f64 v[116:117], v[22:23], s[30:31], v[56:57]
	v_fma_f64 v[124:125], v[22:23], s[48:49], v[95:96]
	v_fma_f64 v[114:115], v[22:23], s[52:53], v[56:57]
	v_fma_f64 v[118:119], v[22:23], s[36:37], v[93:94]
	v_fma_f64 v[93:94], v[22:23], s[42:43], v[93:94]
	v_fma_f64 v[95:96], v[22:23], s[54:55], v[95:96]
	v_fma_f64 v[126:127], v[22:23], s[44:45], v[104:105]
	v_fma_f64 v[104:105], v[22:23], s[26:27], v[104:105]
	v_fma_f64 v[136:137], v[22:23], s[40:41], v[106:107]
	v_fma_f64 v[106:107], v[22:23], s[34:35], v[106:107]
	v_add_f64 v[50:51], v[0:1], v[8:9]
	v_add_f64 v[8:9], v[0:1], v[77:78]
	v_mul_f64 v[77:78], v[164:165], s[56:57]
	v_add_f64 v[10:11], v[0:1], v[10:11]
	v_add_f64 v[144:145], v[0:1], v[79:80]
	;; [unrolled: 1-line block ×10, first 2 shown]
	v_mul_f64 v[79:80], v[162:163], s[20:21]
	v_mul_f64 v[81:82], v[160:161], s[30:31]
	v_fma_f64 v[108:109], v[22:23], s[46:47], v[18:19]
	v_fma_f64 v[18:19], v[22:23], s[24:25], v[18:19]
	;; [unrolled: 1-line block ×4, first 2 shown]
	v_add_f64 v[22:23], v[0:1], v[30:31]
	v_add_f64 v[142:143], v[2:3], v[112:113]
	;; [unrolled: 1-line block ×15, first 2 shown]
	v_mul_f64 v[83:84], v[154:155], s[18:19]
	v_mul_f64 v[85:86], v[152:153], s[42:43]
	;; [unrolled: 1-line block ×6, first 2 shown]
	v_fma_f64 v[0:1], v[42:43], s[20:21], v[77:78]
	v_mul_f64 v[104:105], v[58:59], s[8:9]
	v_mul_f64 v[106:107], v[73:74], s[34:35]
	;; [unrolled: 1-line block ×7, first 2 shown]
	v_fma_f64 v[12:13], v[36:37], s[18:19], v[81:82]
	v_add_f64 v[30:31], v[2:3], v[108:109]
	v_add_f64 v[56:57], v[2:3], v[18:19]
	;; [unrolled: 1-line block ×5, first 2 shown]
	v_fma_f64 v[2:3], v[48:49], s[38:39], v[79:80]
	v_mul_f64 v[108:109], v[68:69], s[0:1]
	v_mul_f64 v[20:21], v[162:163], s[16:17]
	;; [unrolled: 1-line block ×3, first 2 shown]
	v_add_f64 v[0:1], v[0:1], v[22:23]
	v_mul_f64 v[22:23], v[154:155], s[8:9]
	v_add_f64 v[2:3], v[2:3], v[30:31]
	v_mul_f64 v[30:31], v[87:88], s[2:3]
	s_delay_alu instid0(VALU_DEP_4) | instskip(SKIP_1) | instid1(VALU_DEP_1)
	v_add_f64 v[0:1], v[12:13], v[0:1]
	v_fma_f64 v[12:13], v[38:39], s[52:53], v[83:84]
	v_add_f64 v[2:3], v[12:13], v[2:3]
	v_fma_f64 v[12:13], v[34:35], s[16:17], v[85:86]
	s_delay_alu instid0(VALU_DEP_1) | instskip(SKIP_1) | instid1(VALU_DEP_1)
	v_add_f64 v[0:1], v[12:13], v[0:1]
	v_fma_f64 v[12:13], v[40:41], s[36:37], v[89:90]
	v_add_f64 v[2:3], v[12:13], v[2:3]
	v_fma_f64 v[12:13], v[46:47], s[14:15], v[91:92]
	s_delay_alu instid0(VALU_DEP_1) | instskip(SKIP_1) | instid1(VALU_DEP_1)
	;; [unrolled: 5-line block ×5, first 2 shown]
	v_add_f64 v[0:1], v[12:13], v[0:1]
	v_fma_f64 v[12:13], v[64:65], s[50:51], v[108:109]
	v_add_f64 v[2:3], v[12:13], v[2:3]
	v_fma_f64 v[12:13], v[42:43], s[16:17], v[16:17]
	v_fma_f64 v[16:17], v[42:43], s[16:17], -v[16:17]
	s_delay_alu instid0(VALU_DEP_2) | instskip(SKIP_1) | instid1(VALU_DEP_3)
	v_add_f64 v[8:9], v[12:13], v[8:9]
	v_fma_f64 v[12:13], v[48:49], s[36:37], v[20:21]
	v_add_f64 v[10:11], v[16:17], v[10:11]
	v_fma_f64 v[16:17], v[48:49], s[42:43], v[20:21]
	s_delay_alu instid0(VALU_DEP_3) | instskip(SKIP_1) | instid1(VALU_DEP_3)
	v_add_f64 v[12:13], v[12:13], v[18:19]
	v_mul_f64 v[18:19], v[160:161], s[26:27]
	v_add_f64 v[16:17], v[16:17], v[142:143]
	v_mul_f64 v[142:143], v[97:98], s[38:39]
	s_delay_alu instid0(VALU_DEP_3) | instskip(SKIP_1) | instid1(VALU_DEP_2)
	v_fma_f64 v[14:15], v[36:37], s[8:9], v[18:19]
	v_fma_f64 v[18:19], v[36:37], s[8:9], -v[18:19]
	v_add_f64 v[8:9], v[14:15], v[8:9]
	v_fma_f64 v[14:15], v[38:39], s[44:45], v[22:23]
	s_delay_alu instid0(VALU_DEP_3) | instskip(SKIP_1) | instid1(VALU_DEP_3)
	v_add_f64 v[10:11], v[18:19], v[10:11]
	v_fma_f64 v[18:19], v[38:39], s[26:27], v[22:23]
	v_add_f64 v[12:13], v[14:15], v[12:13]
	v_fma_f64 v[14:15], v[34:35], s[0:1], v[24:25]
	s_delay_alu instid0(VALU_DEP_3) | instskip(SKIP_2) | instid1(VALU_DEP_4)
	v_add_f64 v[16:17], v[18:19], v[16:17]
	v_fma_f64 v[18:19], v[34:35], s[0:1], -v[24:25]
	v_mul_f64 v[24:25], v[162:163], s[8:9]
	v_add_f64 v[8:9], v[14:15], v[8:9]
	v_fma_f64 v[14:15], v[40:41], s[50:51], v[26:27]
	s_delay_alu instid0(VALU_DEP_4) | instskip(SKIP_2) | instid1(VALU_DEP_4)
	v_add_f64 v[10:11], v[18:19], v[10:11]
	v_fma_f64 v[18:19], v[40:41], s[28:29], v[26:27]
	v_mul_f64 v[26:27], v[160:161], s[50:51]
	v_add_f64 v[12:13], v[14:15], v[12:13]
	v_fma_f64 v[14:15], v[46:47], s[2:3], v[28:29]
	s_delay_alu instid0(VALU_DEP_4)
	v_add_f64 v[16:17], v[18:19], v[16:17]
	v_fma_f64 v[18:19], v[46:47], s[2:3], -v[28:29]
	v_fma_f64 v[22:23], v[36:37], s[0:1], v[26:27]
	v_mul_f64 v[28:29], v[154:155], s[0:1]
	v_fma_f64 v[26:27], v[36:37], s[0:1], -v[26:27]
	v_add_f64 v[8:9], v[14:15], v[8:9]
	v_fma_f64 v[14:15], v[32:33], s[34:35], v[30:31]
	v_add_f64 v[10:11], v[18:19], v[10:11]
	v_fma_f64 v[18:19], v[32:33], s[40:41], v[30:31]
	v_mul_f64 v[30:31], v[152:153], s[48:49]
	s_delay_alu instid0(VALU_DEP_4) | instskip(SKIP_1) | instid1(VALU_DEP_4)
	v_add_f64 v[12:13], v[14:15], v[12:13]
	v_fma_f64 v[14:15], v[54:55], s[14:15], v[140:141]
	v_add_f64 v[16:17], v[18:19], v[16:17]
	v_fma_f64 v[18:19], v[54:55], s[14:15], -v[140:141]
	v_mul_f64 v[140:141], v[138:139], s[14:15]
	s_delay_alu instid0(VALU_DEP_4) | instskip(SKIP_1) | instid1(VALU_DEP_4)
	v_add_f64 v[8:9], v[14:15], v[8:9]
	v_fma_f64 v[14:15], v[44:45], s[54:55], v[184:185]
	v_add_f64 v[10:11], v[18:19], v[10:11]
	v_fma_f64 v[18:19], v[44:45], s[48:49], v[184:185]
	v_mul_f64 v[184:185], v[58:59], s[22:23]
	s_delay_alu instid0(VALU_DEP_4) | instskip(SKIP_1) | instid1(VALU_DEP_4)
	v_add_f64 v[12:13], v[14:15], v[12:13]
	v_fma_f64 v[14:15], v[60:61], s[18:19], v[186:187]
	v_add_f64 v[16:17], v[18:19], v[16:17]
	v_fma_f64 v[18:19], v[60:61], s[18:19], -v[186:187]
	v_mul_f64 v[186:187], v[73:74], s[42:43]
	s_delay_alu instid0(VALU_DEP_4) | instskip(SKIP_1) | instid1(VALU_DEP_4)
	v_add_f64 v[8:9], v[14:15], v[8:9]
	v_fma_f64 v[14:15], v[52:53], s[30:31], v[188:189]
	v_add_f64 v[10:11], v[18:19], v[10:11]
	v_fma_f64 v[18:19], v[52:53], s[52:53], v[188:189]
	v_mul_f64 v[188:189], v[62:63], s[16:17]
	s_delay_alu instid0(VALU_DEP_4) | instskip(SKIP_1) | instid1(VALU_DEP_4)
	v_add_f64 v[14:15], v[14:15], v[12:13]
	v_fma_f64 v[12:13], v[71:72], s[22:23], v[190:191]
	v_add_f64 v[16:17], v[18:19], v[16:17]
	v_fma_f64 v[18:19], v[71:72], s[22:23], -v[190:191]
	v_mul_f64 v[190:191], v[66:67], s[34:35]
	s_delay_alu instid0(VALU_DEP_4) | instskip(SKIP_1) | instid1(VALU_DEP_1)
	v_add_f64 v[12:13], v[12:13], v[8:9]
	v_mul_f64 v[8:9], v[68:69], s[22:23]
	v_fma_f64 v[20:21], v[64:65], s[46:47], v[8:9]
	v_fma_f64 v[192:193], v[64:65], s[24:25], v[8:9]
	v_add_f64 v[8:9], v[18:19], v[10:11]
	s_delay_alu instid0(VALU_DEP_3)
	v_add_f64 v[10:11], v[20:21], v[16:17]
	v_mul_f64 v[16:17], v[164:165], s[26:27]
	v_fma_f64 v[20:21], v[48:49], s[44:45], v[24:25]
	v_fma_f64 v[24:25], v[48:49], s[26:27], v[24:25]
	v_add_f64 v[14:15], v[192:193], v[14:15]
	ds_store_b128 v208, v[4:7]
	ds_store_b128 v208, v[0:3] offset:16
	ds_store_b128 v208, v[12:15] offset:32
	v_fma_f64 v[18:19], v[42:43], s[8:9], v[16:17]
	v_add_f64 v[20:21], v[20:21], v[146:147]
	v_fma_f64 v[16:17], v[42:43], s[8:9], -v[16:17]
	v_add_f64 v[24:25], v[24:25], v[150:151]
	v_mul_f64 v[146:147], v[75:76], s[24:25]
	v_mul_f64 v[150:151], v[97:98], s[30:31]
	v_add_f64 v[18:19], v[18:19], v[144:145]
	v_mul_f64 v[144:145], v[87:88], s[20:21]
	v_add_f64 v[16:17], v[16:17], v[148:149]
	v_mul_f64 v[148:149], v[138:139], s[22:23]
	s_delay_alu instid0(VALU_DEP_4) | instskip(SKIP_1) | instid1(VALU_DEP_4)
	v_add_f64 v[18:19], v[22:23], v[18:19]
	v_fma_f64 v[22:23], v[38:39], s[28:29], v[28:29]
	v_add_f64 v[16:17], v[26:27], v[16:17]
	v_fma_f64 v[26:27], v[38:39], s[50:51], v[28:29]
	s_delay_alu instid0(VALU_DEP_3) | instskip(SKIP_1) | instid1(VALU_DEP_3)
	v_add_f64 v[20:21], v[22:23], v[20:21]
	v_fma_f64 v[22:23], v[34:35], s[14:15], v[30:31]
	v_add_f64 v[24:25], v[26:27], v[24:25]
	v_fma_f64 v[26:27], v[34:35], s[14:15], -v[30:31]
	s_delay_alu instid0(VALU_DEP_3) | instskip(SKIP_1) | instid1(VALU_DEP_3)
	v_add_f64 v[18:19], v[22:23], v[18:19]
	v_fma_f64 v[22:23], v[40:41], s[54:55], v[140:141]
	v_add_f64 v[16:17], v[26:27], v[16:17]
	v_fma_f64 v[26:27], v[40:41], s[48:49], v[140:141]
	v_mul_f64 v[140:141], v[162:163], s[0:1]
	s_delay_alu instid0(VALU_DEP_4) | instskip(SKIP_1) | instid1(VALU_DEP_4)
	v_add_f64 v[20:21], v[22:23], v[20:21]
	v_fma_f64 v[22:23], v[46:47], s[20:21], v[142:143]
	v_add_f64 v[24:25], v[26:27], v[24:25]
	v_fma_f64 v[26:27], v[46:47], s[20:21], -v[142:143]
	v_mul_f64 v[142:143], v[160:161], s[48:49]
	v_fma_f64 v[28:29], v[48:49], s[50:51], v[140:141]
	v_fma_f64 v[140:141], v[48:49], s[28:29], v[140:141]
	v_add_f64 v[18:19], v[22:23], v[18:19]
	v_fma_f64 v[22:23], v[32:33], s[56:57], v[144:145]
	v_add_f64 v[16:17], v[26:27], v[16:17]
	v_fma_f64 v[26:27], v[32:33], s[38:39], v[144:145]
	v_fma_f64 v[30:31], v[36:37], s[14:15], v[142:143]
	v_mul_f64 v[144:145], v[154:155], s[14:15]
	v_add_f64 v[28:29], v[28:29], v[158:159]
	v_fma_f64 v[142:143], v[36:37], s[14:15], -v[142:143]
	v_add_f64 v[140:141], v[140:141], v[170:171]
	v_mul_f64 v[158:159], v[75:76], s[34:35]
	v_mul_f64 v[170:171], v[87:88], s[0:1]
	v_add_f64 v[20:21], v[22:23], v[20:21]
	v_fma_f64 v[22:23], v[54:55], s[22:23], v[146:147]
	v_add_f64 v[24:25], v[26:27], v[24:25]
	v_fma_f64 v[26:27], v[54:55], s[22:23], -v[146:147]
	v_mul_f64 v[146:147], v[152:153], s[46:47]
	s_delay_alu instid0(VALU_DEP_4) | instskip(SKIP_1) | instid1(VALU_DEP_4)
	v_add_f64 v[18:19], v[22:23], v[18:19]
	v_fma_f64 v[22:23], v[44:45], s[46:47], v[184:185]
	v_add_f64 v[16:17], v[26:27], v[16:17]
	v_fma_f64 v[26:27], v[44:45], s[24:25], v[184:185]
	v_mul_f64 v[184:185], v[58:59], s[2:3]
	s_delay_alu instid0(VALU_DEP_4) | instskip(SKIP_1) | instid1(VALU_DEP_4)
	v_add_f64 v[20:21], v[22:23], v[20:21]
	v_fma_f64 v[22:23], v[60:61], s[16:17], v[186:187]
	v_add_f64 v[24:25], v[26:27], v[24:25]
	v_fma_f64 v[26:27], v[60:61], s[16:17], -v[186:187]
	v_mul_f64 v[186:187], v[73:74], s[44:45]
	s_delay_alu instid0(VALU_DEP_4) | instskip(SKIP_1) | instid1(VALU_DEP_4)
	v_add_f64 v[18:19], v[22:23], v[18:19]
	v_fma_f64 v[22:23], v[52:53], s[36:37], v[188:189]
	v_add_f64 v[16:17], v[26:27], v[16:17]
	v_fma_f64 v[26:27], v[52:53], s[42:43], v[188:189]
	v_mul_f64 v[188:189], v[62:63], s[8:9]
	s_delay_alu instid0(VALU_DEP_4) | instskip(SKIP_1) | instid1(VALU_DEP_4)
	v_add_f64 v[22:23], v[22:23], v[20:21]
	v_fma_f64 v[20:21], v[71:72], s[2:3], v[190:191]
	v_add_f64 v[24:25], v[26:27], v[24:25]
	v_fma_f64 v[26:27], v[71:72], s[2:3], -v[190:191]
	v_mul_f64 v[190:191], v[66:67], s[38:39]
	s_delay_alu instid0(VALU_DEP_4) | instskip(SKIP_1) | instid1(VALU_DEP_4)
	v_add_f64 v[20:21], v[20:21], v[18:19]
	v_mul_f64 v[18:19], v[68:69], s[2:3]
	v_add_f64 v[16:17], v[26:27], v[16:17]
	s_delay_alu instid0(VALU_DEP_2) | instskip(SKIP_1) | instid1(VALU_DEP_2)
	v_fma_f64 v[192:193], v[64:65], s[40:41], v[18:19]
	v_fma_f64 v[18:19], v[64:65], s[34:35], v[18:19]
	v_add_f64 v[22:23], v[192:193], v[22:23]
	s_delay_alu instid0(VALU_DEP_2) | instskip(SKIP_1) | instid1(VALU_DEP_1)
	v_add_f64 v[18:19], v[18:19], v[24:25]
	v_mul_f64 v[24:25], v[164:165], s[28:29]
	v_fma_f64 v[26:27], v[42:43], s[0:1], v[24:25]
	v_fma_f64 v[24:25], v[42:43], s[0:1], -v[24:25]
	s_delay_alu instid0(VALU_DEP_2) | instskip(NEXT) | instid1(VALU_DEP_2)
	v_add_f64 v[26:27], v[26:27], v[156:157]
	v_add_f64 v[24:25], v[24:25], v[168:169]
	v_mul_f64 v[156:157], v[87:88], s[18:19]
	v_mul_f64 v[168:169], v[97:98], s[28:29]
	s_delay_alu instid0(VALU_DEP_4) | instskip(SKIP_4) | instid1(VALU_DEP_4)
	v_add_f64 v[26:27], v[30:31], v[26:27]
	v_fma_f64 v[30:31], v[38:39], s[54:55], v[144:145]
	v_add_f64 v[24:25], v[142:143], v[24:25]
	v_fma_f64 v[142:143], v[38:39], s[48:49], v[144:145]
	v_mul_f64 v[144:145], v[164:165], s[40:41]
	v_add_f64 v[28:29], v[30:31], v[28:29]
	v_fma_f64 v[30:31], v[34:35], s[22:23], v[146:147]
	s_delay_alu instid0(VALU_DEP_4) | instskip(SKIP_2) | instid1(VALU_DEP_4)
	v_add_f64 v[140:141], v[142:143], v[140:141]
	v_fma_f64 v[142:143], v[34:35], s[22:23], -v[146:147]
	v_mul_f64 v[146:147], v[162:163], s[2:3]
	v_add_f64 v[26:27], v[30:31], v[26:27]
	v_fma_f64 v[30:31], v[40:41], s[24:25], v[148:149]
	s_delay_alu instid0(VALU_DEP_4) | instskip(SKIP_2) | instid1(VALU_DEP_4)
	v_add_f64 v[24:25], v[142:143], v[24:25]
	v_fma_f64 v[142:143], v[40:41], s[46:47], v[148:149]
	v_mul_f64 v[148:149], v[160:161], s[38:39]
	v_add_f64 v[28:29], v[30:31], v[28:29]
	v_fma_f64 v[30:31], v[46:47], s[18:19], v[150:151]
	s_delay_alu instid0(VALU_DEP_4) | instskip(SKIP_2) | instid1(VALU_DEP_4)
	v_add_f64 v[140:141], v[142:143], v[140:141]
	v_fma_f64 v[142:143], v[46:47], s[18:19], -v[150:151]
	v_mul_f64 v[150:151], v[154:155], s[20:21]
	v_add_f64 v[26:27], v[30:31], v[26:27]
	v_fma_f64 v[30:31], v[32:33], s[52:53], v[156:157]
	s_delay_alu instid0(VALU_DEP_4) | instskip(SKIP_2) | instid1(VALU_DEP_4)
	;; [unrolled: 12-line block ×4, first 2 shown]
	v_add_f64 v[24:25], v[142:143], v[24:25]
	v_fma_f64 v[142:143], v[52:53], s[44:45], v[188:189]
	v_mul_f64 v[188:189], v[73:74], s[24:25]
	v_add_f64 v[30:31], v[30:31], v[28:29]
	v_fma_f64 v[28:29], v[71:72], s[20:21], v[190:191]
	s_delay_alu instid0(VALU_DEP_4) | instskip(SKIP_2) | instid1(VALU_DEP_4)
	v_add_f64 v[140:141], v[142:143], v[140:141]
	v_fma_f64 v[142:143], v[71:72], s[20:21], -v[190:191]
	v_mul_f64 v[190:191], v[62:63], s[22:23]
	v_add_f64 v[28:29], v[28:29], v[26:27]
	v_mul_f64 v[26:27], v[68:69], s[20:21]
	s_delay_alu instid0(VALU_DEP_4) | instskip(SKIP_1) | instid1(VALU_DEP_3)
	v_add_f64 v[24:25], v[142:143], v[24:25]
	v_fma_f64 v[142:143], v[48:49], s[34:35], v[146:147]
	v_fma_f64 v[192:193], v[64:65], s[56:57], v[26:27]
	;; [unrolled: 1-line block ×3, first 2 shown]
	s_delay_alu instid0(VALU_DEP_3) | instskip(SKIP_1) | instid1(VALU_DEP_4)
	v_add_f64 v[134:135], v[142:143], v[134:135]
	v_fma_f64 v[142:143], v[36:37], s[20:21], v[148:149]
	v_add_f64 v[30:31], v[192:193], v[30:31]
	s_delay_alu instid0(VALU_DEP_4) | instskip(SKIP_2) | instid1(VALU_DEP_2)
	v_add_f64 v[26:27], v[26:27], v[140:141]
	v_fma_f64 v[140:141], v[42:43], s[2:3], v[144:145]
	v_mul_f64 v[192:193], v[66:67], s[26:27]
	v_add_f64 v[140:141], v[140:141], v[210:211]
	s_delay_alu instid0(VALU_DEP_1) | instskip(SKIP_1) | instid1(VALU_DEP_1)
	v_add_f64 v[140:141], v[142:143], v[140:141]
	v_fma_f64 v[142:143], v[38:39], s[56:57], v[150:151]
	v_add_f64 v[134:135], v[142:143], v[134:135]
	v_fma_f64 v[142:143], v[34:35], s[18:19], v[156:157]
	s_delay_alu instid0(VALU_DEP_1) | instskip(SKIP_1) | instid1(VALU_DEP_1)
	v_add_f64 v[140:141], v[142:143], v[140:141]
	v_fma_f64 v[142:143], v[40:41], s[52:53], v[158:159]
	v_add_f64 v[134:135], v[142:143], v[134:135]
	v_fma_f64 v[142:143], v[46:47], s[0:1], v[168:169]
	;; [unrolled: 5-line block ×5, first 2 shown]
	s_delay_alu instid0(VALU_DEP_1) | instskip(SKIP_1) | instid1(VALU_DEP_1)
	v_add_f64 v[140:141], v[142:143], v[140:141]
	v_fma_f64 v[142:143], v[64:65], s[44:45], v[194:195]
	v_add_f64 v[142:143], v[142:143], v[134:135]
	v_fma_f64 v[134:135], v[42:43], s[2:3], -v[144:145]
	v_fma_f64 v[144:145], v[48:49], s[40:41], v[146:147]
	v_fma_f64 v[146:147], v[36:37], s[20:21], -v[148:149]
	v_fma_f64 v[148:149], v[64:65], s[26:27], v[194:195]
	s_delay_alu instid0(VALU_DEP_4) | instskip(NEXT) | instid1(VALU_DEP_4)
	v_add_f64 v[134:135], v[134:135], v[172:173]
	v_add_f64 v[144:145], v[144:145], v[174:175]
	s_delay_alu instid0(VALU_DEP_2) | instskip(SKIP_1) | instid1(VALU_DEP_1)
	v_add_f64 v[134:135], v[146:147], v[134:135]
	v_fma_f64 v[146:147], v[38:39], s[38:39], v[150:151]
	v_add_f64 v[144:145], v[146:147], v[144:145]
	v_fma_f64 v[146:147], v[34:35], s[18:19], -v[156:157]
	v_mul_f64 v[156:157], v[162:163], s[14:15]
	s_delay_alu instid0(VALU_DEP_2) | instskip(SKIP_2) | instid1(VALU_DEP_4)
	v_add_f64 v[134:135], v[146:147], v[134:135]
	v_fma_f64 v[146:147], v[40:41], s[30:31], v[158:159]
	v_mul_f64 v[158:159], v[160:161], s[24:25]
	v_fma_f64 v[150:151], v[48:49], s[54:55], v[156:157]
	v_fma_f64 v[156:157], v[48:49], s[48:49], v[156:157]
	s_delay_alu instid0(VALU_DEP_4)
	v_add_f64 v[144:145], v[146:147], v[144:145]
	v_fma_f64 v[146:147], v[46:47], s[0:1], -v[168:169]
	v_fma_f64 v[168:169], v[36:37], s[22:23], v[158:159]
	v_add_f64 v[150:151], v[150:151], v[178:179]
	v_fma_f64 v[158:159], v[36:37], s[22:23], -v[158:159]
	v_add_f64 v[156:157], v[156:157], v[182:183]
	v_add_f64 v[134:135], v[146:147], v[134:135]
	v_fma_f64 v[146:147], v[32:33], s[28:29], v[170:171]
	s_delay_alu instid0(VALU_DEP_1) | instskip(SKIP_1) | instid1(VALU_DEP_1)
	v_add_f64 v[144:145], v[146:147], v[144:145]
	v_fma_f64 v[146:147], v[54:55], s[16:17], -v[184:185]
	v_add_f64 v[134:135], v[146:147], v[134:135]
	v_fma_f64 v[146:147], v[44:45], s[36:37], v[186:187]
	s_delay_alu instid0(VALU_DEP_1) | instskip(SKIP_1) | instid1(VALU_DEP_1)
	v_add_f64 v[144:145], v[146:147], v[144:145]
	v_fma_f64 v[146:147], v[60:61], s[22:23], -v[188:189]
	v_add_f64 v[134:135], v[146:147], v[134:135]
	v_fma_f64 v[146:147], v[52:53], s[24:25], v[190:191]
	s_delay_alu instid0(VALU_DEP_1) | instskip(SKIP_1) | instid1(VALU_DEP_2)
	v_add_f64 v[146:147], v[146:147], v[144:145]
	v_fma_f64 v[144:145], v[71:72], s[8:9], -v[192:193]
	v_add_f64 v[146:147], v[148:149], v[146:147]
	s_delay_alu instid0(VALU_DEP_2) | instskip(SKIP_1) | instid1(VALU_DEP_1)
	v_add_f64 v[144:145], v[144:145], v[134:135]
	v_mul_f64 v[134:135], v[164:165], s[48:49]
	v_fma_f64 v[148:149], v[42:43], s[14:15], v[134:135]
	v_fma_f64 v[134:135], v[42:43], s[14:15], -v[134:135]
	s_delay_alu instid0(VALU_DEP_2) | instskip(NEXT) | instid1(VALU_DEP_2)
	v_add_f64 v[148:149], v[148:149], v[176:177]
	v_add_f64 v[134:135], v[134:135], v[180:181]
	s_delay_alu instid0(VALU_DEP_2) | instskip(SKIP_1) | instid1(VALU_DEP_3)
	v_add_f64 v[148:149], v[168:169], v[148:149]
	v_mul_f64 v[168:169], v[154:155], s[22:23]
	v_add_f64 v[134:135], v[158:159], v[134:135]
	s_delay_alu instid0(VALU_DEP_2) | instskip(SKIP_1) | instid1(VALU_DEP_2)
	v_fma_f64 v[170:171], v[38:39], s[46:47], v[168:169]
	v_fma_f64 v[158:159], v[38:39], s[24:25], v[168:169]
	v_add_f64 v[150:151], v[170:171], v[150:151]
	v_mul_f64 v[170:171], v[152:153], s[34:35]
	s_delay_alu instid0(VALU_DEP_3) | instskip(NEXT) | instid1(VALU_DEP_2)
	v_add_f64 v[156:157], v[158:159], v[156:157]
	v_fma_f64 v[172:173], v[34:35], s[2:3], v[170:171]
	v_fma_f64 v[158:159], v[34:35], s[2:3], -v[170:171]
	s_delay_alu instid0(VALU_DEP_2) | instskip(SKIP_1) | instid1(VALU_DEP_3)
	v_add_f64 v[148:149], v[172:173], v[148:149]
	v_mul_f64 v[172:173], v[138:139], s[2:3]
	v_add_f64 v[134:135], v[158:159], v[134:135]
	s_delay_alu instid0(VALU_DEP_2) | instskip(SKIP_1) | instid1(VALU_DEP_2)
	v_fma_f64 v[174:175], v[40:41], s[40:41], v[172:173]
	v_fma_f64 v[158:159], v[40:41], s[34:35], v[172:173]
	v_add_f64 v[150:151], v[174:175], v[150:151]
	v_mul_f64 v[174:175], v[97:98], s[36:37]
	s_delay_alu instid0(VALU_DEP_3) | instskip(NEXT) | instid1(VALU_DEP_2)
	v_add_f64 v[156:157], v[158:159], v[156:157]
	v_fma_f64 v[176:177], v[46:47], s[16:17], v[174:175]
	v_fma_f64 v[158:159], v[46:47], s[16:17], -v[174:175]
	;; [unrolled: 13-line block ×5, first 2 shown]
	s_delay_alu instid0(VALU_DEP_2) | instskip(SKIP_1) | instid1(VALU_DEP_3)
	v_add_f64 v[148:149], v[192:193], v[148:149]
	v_mul_f64 v[192:193], v[68:69], s[18:19]
	v_add_f64 v[156:157], v[156:157], v[134:135]
	v_mul_f64 v[134:135], v[164:165], s[52:53]
	s_delay_alu instid0(VALU_DEP_3) | instskip(SKIP_2) | instid1(VALU_DEP_3)
	v_fma_f64 v[168:169], v[64:65], s[52:53], v[192:193]
	v_fma_f64 v[194:195], v[64:65], s[30:31], v[192:193]
	v_mul_f64 v[192:193], v[66:67], s[54:55]
	v_add_f64 v[158:159], v[168:169], v[158:159]
	v_fma_f64 v[168:169], v[42:43], s[18:19], v[134:135]
	v_fma_f64 v[134:135], v[42:43], s[18:19], -v[134:135]
	v_add_f64 v[150:151], v[194:195], v[150:151]
	v_mul_f64 v[194:195], v[68:69], s[14:15]
	s_delay_alu instid0(VALU_DEP_4) | instskip(SKIP_2) | instid1(VALU_DEP_2)
	v_add_f64 v[128:129], v[168:169], v[128:129]
	v_mul_f64 v[168:169], v[162:163], s[18:19]
	v_add_f64 v[124:125], v[134:135], v[124:125]
	v_fma_f64 v[170:171], v[48:49], s[30:31], v[168:169]
	v_fma_f64 v[134:135], v[48:49], s[52:53], v[168:169]
	s_delay_alu instid0(VALU_DEP_2) | instskip(SKIP_1) | instid1(VALU_DEP_3)
	v_add_f64 v[126:127], v[170:171], v[126:127]
	v_mul_f64 v[170:171], v[160:161], s[42:43]
	v_add_f64 v[118:119], v[134:135], v[118:119]
	s_delay_alu instid0(VALU_DEP_2) | instskip(SKIP_2) | instid1(VALU_DEP_3)
	v_fma_f64 v[172:173], v[36:37], s[16:17], v[170:171]
	v_fma_f64 v[134:135], v[36:37], s[16:17], -v[170:171]
	v_fma_f64 v[170:171], v[64:65], s[54:55], v[194:195]
	v_add_f64 v[128:129], v[172:173], v[128:129]
	v_mul_f64 v[172:173], v[154:155], s[16:17]
	s_delay_alu instid0(VALU_DEP_4) | instskip(SKIP_1) | instid1(VALU_DEP_3)
	v_add_f64 v[124:125], v[134:135], v[124:125]
	v_mul_f64 v[154:155], v[154:155], s[2:3]
	v_fma_f64 v[174:175], v[38:39], s[36:37], v[172:173]
	v_fma_f64 v[134:135], v[38:39], s[42:43], v[172:173]
	s_delay_alu instid0(VALU_DEP_2) | instskip(SKIP_1) | instid1(VALU_DEP_3)
	v_add_f64 v[126:127], v[174:175], v[126:127]
	v_mul_f64 v[174:175], v[152:153], s[44:45]
	v_add_f64 v[118:119], v[134:135], v[118:119]
	v_mul_f64 v[152:153], v[152:153], s[38:39]
	s_delay_alu instid0(VALU_DEP_3) | instskip(SKIP_1) | instid1(VALU_DEP_2)
	v_fma_f64 v[176:177], v[34:35], s[8:9], v[174:175]
	v_fma_f64 v[134:135], v[34:35], s[8:9], -v[174:175]
	v_add_f64 v[128:129], v[176:177], v[128:129]
	v_mul_f64 v[176:177], v[138:139], s[8:9]
	s_delay_alu instid0(VALU_DEP_3) | instskip(SKIP_1) | instid1(VALU_DEP_3)
	v_add_f64 v[124:125], v[134:135], v[124:125]
	v_mul_f64 v[138:139], v[138:139], s[20:21]
	v_fma_f64 v[178:179], v[40:41], s[26:27], v[176:177]
	v_fma_f64 v[134:135], v[40:41], s[44:45], v[176:177]
	s_delay_alu instid0(VALU_DEP_2) | instskip(SKIP_1) | instid1(VALU_DEP_3)
	v_add_f64 v[126:127], v[178:179], v[126:127]
	v_mul_f64 v[178:179], v[97:98], s[24:25]
	v_add_f64 v[118:119], v[134:135], v[118:119]
	v_mul_f64 v[97:98], v[97:98], s[26:27]
	s_delay_alu instid0(VALU_DEP_3) | instskip(SKIP_1) | instid1(VALU_DEP_2)
	v_fma_f64 v[180:181], v[46:47], s[22:23], v[178:179]
	v_fma_f64 v[134:135], v[46:47], s[22:23], -v[178:179]
	v_add_f64 v[128:129], v[180:181], v[128:129]
	v_mul_f64 v[180:181], v[87:88], s[22:23]
	s_delay_alu instid0(VALU_DEP_3) | instskip(SKIP_1) | instid1(VALU_DEP_3)
	;; [unrolled: 15-line block ×4, first 2 shown]
	v_add_f64 v[124:125], v[134:135], v[124:125]
	v_mul_f64 v[62:63], v[62:63], s[14:15]
	v_fma_f64 v[134:135], v[52:53], s[38:39], v[188:189]
	v_fma_f64 v[190:191], v[52:53], s[56:57], v[188:189]
	s_delay_alu instid0(VALU_DEP_2) | instskip(SKIP_1) | instid1(VALU_DEP_3)
	v_add_f64 v[118:119], v[134:135], v[118:119]
	v_fma_f64 v[134:135], v[71:72], s[14:15], -v[192:193]
	v_add_f64 v[190:191], v[190:191], v[126:127]
	v_fma_f64 v[126:127], v[71:72], s[14:15], v[192:193]
	s_delay_alu instid0(VALU_DEP_4) | instskip(SKIP_2) | instid1(VALU_DEP_4)
	v_add_f64 v[170:171], v[170:171], v[118:119]
	v_mul_f64 v[118:119], v[164:165], s[46:47]
	v_add_f64 v[168:169], v[134:135], v[124:125]
	v_add_f64 v[126:127], v[126:127], v[128:129]
	v_fma_f64 v[128:129], v[64:65], s[48:49], v[194:195]
	s_delay_alu instid0(VALU_DEP_4) | instskip(NEXT) | instid1(VALU_DEP_2)
	v_fma_f64 v[124:125], v[42:43], s[22:23], v[118:119]
	v_add_f64 v[128:129], v[128:129], v[190:191]
	s_delay_alu instid0(VALU_DEP_2) | instskip(SKIP_2) | instid1(VALU_DEP_2)
	v_add_f64 v[116:117], v[124:125], v[116:117]
	v_mul_f64 v[124:125], v[162:163], s[22:23]
	v_mul_f64 v[162:163], v[68:69], s[16:17]
	v_fma_f64 v[134:135], v[48:49], s[24:25], v[124:125]
	s_delay_alu instid0(VALU_DEP_2) | instskip(NEXT) | instid1(VALU_DEP_2)
	v_fma_f64 v[68:69], v[64:65], s[42:43], v[162:163]
	v_add_f64 v[114:115], v[134:135], v[114:115]
	v_mul_f64 v[134:135], v[160:161], s[34:35]
	s_delay_alu instid0(VALU_DEP_1) | instskip(NEXT) | instid1(VALU_DEP_1)
	v_fma_f64 v[160:161], v[36:37], s[2:3], v[134:135]
	v_add_f64 v[116:117], v[160:161], v[116:117]
	v_fma_f64 v[160:161], v[38:39], s[40:41], v[154:155]
	s_delay_alu instid0(VALU_DEP_1) | instskip(SKIP_1) | instid1(VALU_DEP_1)
	v_add_f64 v[114:115], v[160:161], v[114:115]
	v_fma_f64 v[160:161], v[34:35], s[20:21], v[152:153]
	v_add_f64 v[116:117], v[160:161], v[116:117]
	v_fma_f64 v[160:161], v[40:41], s[56:57], v[138:139]
	s_delay_alu instid0(VALU_DEP_1) | instskip(SKIP_2) | instid1(VALU_DEP_2)
	v_add_f64 v[114:115], v[160:161], v[114:115]
	v_fma_f64 v[160:161], v[46:47], s[8:9], v[97:98]
	v_fma_f64 v[97:98], v[46:47], s[8:9], -v[97:98]
	v_add_f64 v[116:117], v[160:161], v[116:117]
	v_fma_f64 v[160:161], v[32:33], s[44:45], v[87:88]
	v_fma_f64 v[87:88], v[32:33], s[26:27], v[87:88]
	;; [unrolled: 1-line block ×3, first 2 shown]
	s_delay_alu instid0(VALU_DEP_3) | instskip(SKIP_2) | instid1(VALU_DEP_2)
	v_add_f64 v[114:115], v[160:161], v[114:115]
	v_fma_f64 v[160:161], v[54:55], s[18:19], v[75:76]
	v_fma_f64 v[75:76], v[54:55], s[18:19], -v[75:76]
	v_add_f64 v[116:117], v[160:161], v[116:117]
	v_fma_f64 v[160:161], v[44:45], s[30:31], v[58:59]
	v_fma_f64 v[58:59], v[44:45], s[52:53], v[58:59]
	s_delay_alu instid0(VALU_DEP_2) | instskip(SKIP_2) | instid1(VALU_DEP_2)
	v_add_f64 v[114:115], v[160:161], v[114:115]
	v_fma_f64 v[160:161], v[60:61], s[14:15], v[73:74]
	v_fma_f64 v[73:74], v[60:61], s[14:15], -v[73:74]
	v_add_f64 v[116:117], v[160:161], v[116:117]
	v_fma_f64 v[160:161], v[52:53], s[48:49], v[62:63]
	v_fma_f64 v[62:63], v[52:53], s[54:55], v[62:63]
	s_delay_alu instid0(VALU_DEP_2) | instskip(SKIP_1) | instid1(VALU_DEP_2)
	v_add_f64 v[114:115], v[160:161], v[114:115]
	v_mul_f64 v[160:161], v[66:67], s[36:37]
	v_add_f64 v[68:69], v[68:69], v[114:115]
	v_fma_f64 v[114:115], v[42:43], s[22:23], -v[118:119]
	v_fma_f64 v[42:43], v[42:43], s[20:21], -v[77:78]
	s_delay_alu instid0(VALU_DEP_4) | instskip(NEXT) | instid1(VALU_DEP_3)
	v_fma_f64 v[66:67], v[71:72], s[16:17], v[160:161]
	v_add_f64 v[112:113], v[114:115], v[112:113]
	v_fma_f64 v[114:115], v[48:49], s[46:47], v[124:125]
	v_fma_f64 v[48:49], v[48:49], s[56:57], v[79:80]
	v_add_f64 v[42:43], v[42:43], v[50:51]
	v_add_f64 v[66:67], v[66:67], v[116:117]
	s_delay_alu instid0(VALU_DEP_4) | instskip(SKIP_3) | instid1(VALU_DEP_3)
	v_add_f64 v[110:111], v[114:115], v[110:111]
	v_fma_f64 v[114:115], v[36:37], s[2:3], -v[134:135]
	v_add_f64 v[48:49], v[48:49], v[56:57]
	v_fma_f64 v[36:37], v[36:37], s[18:19], -v[81:82]
	v_add_f64 v[112:113], v[114:115], v[112:113]
	v_fma_f64 v[114:115], v[38:39], s[34:35], v[154:155]
	v_fma_f64 v[38:39], v[38:39], s[30:31], v[83:84]
	s_delay_alu instid0(VALU_DEP_4) | instskip(NEXT) | instid1(VALU_DEP_3)
	v_add_f64 v[36:37], v[36:37], v[42:43]
	v_add_f64 v[110:111], v[114:115], v[110:111]
	v_fma_f64 v[114:115], v[34:35], s[20:21], -v[152:153]
	s_delay_alu instid0(VALU_DEP_4) | instskip(SKIP_1) | instid1(VALU_DEP_3)
	v_add_f64 v[38:39], v[38:39], v[48:49]
	v_fma_f64 v[34:35], v[34:35], s[16:17], -v[85:86]
	v_add_f64 v[112:113], v[114:115], v[112:113]
	v_fma_f64 v[114:115], v[40:41], s[38:39], v[138:139]
	v_fma_f64 v[40:41], v[40:41], s[42:43], v[89:90]
	s_delay_alu instid0(VALU_DEP_4) | instskip(NEXT) | instid1(VALU_DEP_4)
	v_add_f64 v[34:35], v[34:35], v[36:37]
	v_add_f64 v[97:98], v[97:98], v[112:113]
	s_delay_alu instid0(VALU_DEP_4) | instskip(NEXT) | instid1(VALU_DEP_4)
	v_add_f64 v[110:111], v[114:115], v[110:111]
	v_add_f64 v[36:37], v[40:41], v[38:39]
	v_fma_f64 v[38:39], v[46:47], s[14:15], -v[91:92]
	s_delay_alu instid0(VALU_DEP_4) | instskip(NEXT) | instid1(VALU_DEP_4)
	v_add_f64 v[75:76], v[75:76], v[97:98]
	v_add_f64 v[87:88], v[87:88], v[110:111]
	s_delay_alu instid0(VALU_DEP_4) | instskip(NEXT) | instid1(VALU_DEP_4)
	v_add_f64 v[32:33], v[32:33], v[36:37]
	v_add_f64 v[34:35], v[38:39], v[34:35]
	v_fma_f64 v[36:37], v[54:55], s[8:9], -v[95:96]
	v_fma_f64 v[38:39], v[44:45], s[26:27], v[104:105]
	v_add_nc_u32_e32 v98, 0x220, v209
	v_add_f64 v[73:74], v[73:74], v[75:76]
	v_add_f64 v[58:59], v[58:59], v[87:88]
	v_fma_f64 v[75:76], v[64:65], s[36:37], v[162:163]
	v_add_f64 v[34:35], v[36:37], v[34:35]
	v_add_f64 v[32:33], v[38:39], v[32:33]
	v_fma_f64 v[36:37], v[60:61], s[2:3], -v[106:107]
	v_fma_f64 v[38:39], v[52:53], s[34:35], v[136:137]
	v_add_nc_u32_e32 v106, 0x110, v209
	v_add_f64 v[58:59], v[62:63], v[58:59]
	v_fma_f64 v[62:63], v[71:72], s[16:17], -v[160:161]
	v_add_f64 v[34:35], v[36:37], v[34:35]
	v_add_f64 v[36:37], v[38:39], v[32:33]
	v_fma_f64 v[32:33], v[71:72], s[0:1], -v[166:167]
	v_fma_f64 v[38:39], v[64:65], s[28:29], v[108:109]
	v_add_f64 v[112:113], v[75:76], v[58:59]
	v_add_f64 v[110:111], v[62:63], v[73:74]
	s_delay_alu instid0(VALU_DEP_4) | instskip(NEXT) | instid1(VALU_DEP_4)
	v_add_f64 v[32:33], v[32:33], v[34:35]
	v_add_f64 v[34:35], v[38:39], v[36:37]
	ds_store_b128 v208, v[20:23] offset:48
	ds_store_b128 v208, v[28:31] offset:64
	;; [unrolled: 1-line block ×14, first 2 shown]
	s_and_saveexec_b32 s33, vcc_lo
	s_cbranch_execz .LBB0_13
; %bb.12:
	s_clause 0x6
	scratch_load_b128 v[4:7], off, off offset:52
	scratch_load_b128 v[8:11], off, off offset:84
	;; [unrolled: 1-line block ×7, first 2 shown]
	v_add_f64 v[0:1], v[246:247], v[242:243]
	v_add_f64 v[2:3], v[244:245], v[240:241]
	scratch_store_b128 off, v[130:133], off offset:864 ; 16-byte Folded Spill
	v_mov_b32_e32 v237, v106
	scratch_load_b128 v[68:71], off, off offset:4 ; 16-byte Folded Reload
	scratch_store_b32 off, v238, off offset:960 ; 4-byte Folded Spill
	v_add_f64 v[0:1], v[0:1], v[250:251]
	v_add_f64 v[2:3], v[2:3], v[248:249]
	s_delay_alu instid0(VALU_DEP_2) | instskip(NEXT) | instid1(VALU_DEP_2)
	v_add_f64 v[0:1], v[0:1], v[254:255]
	v_add_f64 v[2:3], v[2:3], v[252:253]
	s_waitcnt vmcnt(7)
	s_delay_alu instid0(VALU_DEP_2) | instskip(NEXT) | instid1(VALU_DEP_2)
	v_add_f64 v[0:1], v[0:1], v[6:7]
	v_add_f64 v[2:3], v[2:3], v[4:5]
	s_waitcnt vmcnt(4)
	v_add_f64 v[50:51], v[12:13], -v[28:29]
	v_add_f64 v[48:49], v[14:15], -v[30:31]
	s_waitcnt vmcnt(1)
	v_add_f64 v[32:33], v[16:17], -v[24:25]
	v_add_f64 v[34:35], v[18:19], -v[26:27]
	v_add_f64 v[130:131], v[18:19], v[26:27]
	v_add_f64 v[132:133], v[16:17], v[24:25]
	;; [unrolled: 1-line block ×4, first 2 shown]
	v_mul_f64 v[190:191], v[50:51], s[26:27]
	v_mul_f64 v[192:193], v[48:49], s[26:27]
	;; [unrolled: 1-line block ×9, first 2 shown]
	v_add_f64 v[0:1], v[0:1], v[14:15]
	v_add_f64 v[2:3], v[2:3], v[12:13]
	s_delay_alu instid0(VALU_DEP_2) | instskip(NEXT) | instid1(VALU_DEP_2)
	v_add_f64 v[0:1], v[0:1], v[22:23]
	v_add_f64 v[2:3], v[2:3], v[20:21]
	s_delay_alu instid0(VALU_DEP_2) | instskip(NEXT) | instid1(VALU_DEP_2)
	v_add_f64 v[0:1], v[0:1], v[18:19]
	v_add_f64 v[2:3], v[2:3], v[16:17]
	scratch_load_b128 v[16:19], off, off offset:164 ; 16-byte Folded Reload
	v_add_f64 v[0:1], v[0:1], v[26:27]
	v_add_f64 v[2:3], v[2:3], v[24:25]
	;; [unrolled: 1-line block ×4, first 2 shown]
	scratch_load_b128 v[12:15], off, off offset:100 ; 16-byte Folded Reload
	s_waitcnt vmcnt(1)
	v_add_f64 v[0:1], v[0:1], v[18:19]
	v_add_f64 v[2:3], v[2:3], v[16:17]
	v_add_f64 v[42:43], v[20:21], -v[16:17]
	v_add_f64 v[40:41], v[22:23], -v[18:19]
	v_add_f64 v[22:23], v[22:23], v[18:19]
	v_add_f64 v[20:21], v[20:21], v[16:17]
	;; [unrolled: 1-line block ×4, first 2 shown]
	s_waitcnt vmcnt(0)
	v_add_f64 v[58:59], v[8:9], -v[12:13]
	v_add_f64 v[56:57], v[10:11], -v[14:15]
	v_add_f64 v[30:31], v[10:11], v[14:15]
	v_add_f64 v[28:29], v[8:9], v[12:13]
	scratch_load_b128 v[8:11], off, off offset:68 ; 16-byte Folded Reload
	v_mul_f64 v[194:195], v[42:43], s[34:35]
	v_mul_f64 v[208:209], v[40:41], s[34:35]
	;; [unrolled: 1-line block ×3, first 2 shown]
	v_add_f64 v[0:1], v[0:1], v[14:15]
	v_add_f64 v[2:3], v[2:3], v[12:13]
	;; [unrolled: 1-line block ×3, first 2 shown]
	v_mul_f64 v[186:187], v[58:59], s[54:55]
	v_mul_f64 v[188:189], v[56:57], s[54:55]
	;; [unrolled: 1-line block ×3, first 2 shown]
	s_waitcnt vmcnt(0)
	v_add_f64 v[62:63], v[4:5], -v[8:9]
	v_add_f64 v[60:61], v[6:7], -v[10:11]
	v_add_f64 v[38:39], v[6:7], v[10:11]
	v_add_f64 v[36:37], v[4:5], v[8:9]
	scratch_load_b128 v[4:7], off, off offset:36 ; 16-byte Folded Reload
	v_add_f64 v[0:1], v[0:1], v[10:11]
	v_add_f64 v[2:3], v[2:3], v[8:9]
	v_add_f64 v[8:9], v[242:243], -v[70:71]
	v_add_f64 v[10:11], v[242:243], v[70:71]
	s_delay_alu instid0(VALU_DEP_2)
	v_mul_f64 v[108:109], v[8:9], s[26:27]
	v_mul_f64 v[110:111], v[8:9], s[54:55]
	;; [unrolled: 1-line block ×6, first 2 shown]
	v_fma_f64 v[126:127], v[12:13], s[8:9], -v[108:109]
	v_fma_f64 v[108:109], v[12:13], s[8:9], v[108:109]
	v_fma_f64 v[128:129], v[12:13], s[14:15], -v[110:111]
	v_fma_f64 v[134:135], v[12:13], s[16:17], -v[112:113]
	v_fma_f64 v[136:137], v[12:13], s[18:19], v[114:115]
	v_fma_f64 v[114:115], v[12:13], s[18:19], -v[114:115]
	v_fma_f64 v[138:139], v[12:13], s[20:21], v[116:117]
	v_fma_f64 v[116:117], v[12:13], s[20:21], -v[116:117]
	v_fma_f64 v[124:125], v[12:13], s[2:3], -v[106:107]
	v_fma_f64 v[106:107], v[12:13], s[2:3], v[106:107]
	v_fma_f64 v[110:111], v[12:13], s[14:15], v[110:111]
	;; [unrolled: 1-line block ×3, first 2 shown]
	v_add_f64 v[126:127], v[244:245], v[126:127]
	v_add_f64 v[136:137], v[244:245], v[136:137]
	;; [unrolled: 1-line block ×5, first 2 shown]
	s_waitcnt vmcnt(0)
	v_add_f64 v[66:67], v[252:253], -v[4:5]
	v_add_f64 v[64:65], v[254:255], -v[6:7]
	v_add_f64 v[46:47], v[254:255], v[6:7]
	v_add_f64 v[44:45], v[252:253], v[4:5]
	;; [unrolled: 1-line block ×4, first 2 shown]
	scratch_load_b128 v[4:7], off, off offset:20 ; 16-byte Folded Reload
	v_mul_f64 v[252:253], v[60:61], s[28:29]
	v_mul_f64 v[254:255], v[58:59], s[40:41]
	;; [unrolled: 1-line block ×3, first 2 shown]
	s_waitcnt vmcnt(0)
	v_add_f64 v[96:97], v[248:249], -v[4:5]
	v_add_f64 v[73:74], v[250:251], -v[6:7]
	v_add_f64 v[52:53], v[250:251], v[6:7]
	v_add_f64 v[54:55], v[248:249], v[4:5]
	;; [unrolled: 1-line block ×4, first 2 shown]
	v_add_f64 v[6:7], v[240:241], -v[68:69]
	v_mul_f64 v[240:241], v[34:35], s[28:29]
	v_mul_f64 v[248:249], v[64:65], s[26:27]
	;; [unrolled: 1-line block ×5, first 2 shown]
	v_add_f64 v[2:3], v[0:1], v[70:71]
	v_add_f64 v[0:1], v[4:5], v[68:69]
	v_mul_f64 v[68:69], v[6:7], s[26:27]
	scratch_store_b128 off, v[213:216], off offset:824 ; 16-byte Folded Spill
	v_mul_f64 v[71:72], v[6:7], s[54:55]
	v_mul_f64 v[76:77], v[6:7], s[42:43]
	;; [unrolled: 1-line block ×9, first 2 shown]
	v_mov_b32_e32 v216, v239
	scratch_store_b128 off, v[0:3], off offset:4 ; 16-byte Folded Spill
	v_fma_f64 v[86:87], v[10:11], s[8:9], v[68:69]
	v_fma_f64 v[68:69], v[10:11], s[8:9], -v[68:69]
	v_fma_f64 v[88:89], v[10:11], s[14:15], v[71:72]
	v_fma_f64 v[90:91], v[10:11], s[16:17], v[76:77]
	v_fma_f64 v[92:93], v[10:11], s[18:19], -v[78:79]
	v_fma_f64 v[78:79], v[10:11], s[18:19], v[78:79]
	v_fma_f64 v[94:95], v[10:11], s[20:21], -v[80:81]
	v_fma_f64 v[80:81], v[10:11], s[20:21], v[80:81]
	v_fma_f64 v[82:83], v[10:11], s[0:1], v[4:5]
	v_fma_f64 v[4:5], v[10:11], s[0:1], -v[4:5]
	v_fma_f64 v[84:85], v[10:11], s[2:3], v[14:15]
	v_fma_f64 v[14:15], v[10:11], s[2:3], -v[14:15]
	v_fma_f64 v[71:72], v[10:11], s[14:15], -v[71:72]
	;; [unrolled: 1-line block ×4, first 2 shown]
	v_fma_f64 v[6:7], v[10:11], s[22:23], v[6:7]
	v_mul_f64 v[10:11], v[8:9], s[28:29]
	v_mul_f64 v[8:9], v[8:9], s[24:25]
	v_add_f64 v[86:87], v[246:247], v[86:87]
	v_add_f64 v[0:1], v[246:247], v[68:69]
	;; [unrolled: 1-line block ×5, first 2 shown]
	v_mul_f64 v[14:15], v[66:67], s[34:35]
	v_add_f64 v[152:153], v[246:247], v[76:77]
	v_add_f64 v[148:149], v[246:247], v[71:72]
	;; [unrolled: 1-line block ×3, first 2 shown]
	v_fma_f64 v[118:119], v[12:13], s[0:1], -v[10:11]
	v_fma_f64 v[140:141], v[12:13], s[22:23], v[8:9]
	v_fma_f64 v[8:9], v[12:13], s[22:23], -v[8:9]
	v_fma_f64 v[10:11], v[12:13], s[0:1], v[10:11]
	v_add_f64 v[12:13], v[246:247], v[82:83]
	v_mul_f64 v[110:111], v[58:59], s[38:39]
	scratch_store_b64 off, v[0:1], off offset:904 ; 8-byte Folded Spill
	v_add_f64 v[0:1], v[244:245], v[108:109]
	v_mul_f64 v[108:109], v[96:97], s[26:27]
	v_fma_f64 v[76:77], v[46:47], s[2:3], v[14:15]
	v_add_f64 v[82:83], v[244:245], v[118:119]
	v_add_f64 v[118:119], v[246:247], v[4:5]
	v_add_f64 v[10:11], v[244:245], v[10:11]
	scratch_store_b64 off, v[0:1], off offset:896 ; 8-byte Folded Spill
	v_add_f64 v[0:1], v[246:247], v[88:89]
	v_add_f64 v[88:89], v[246:247], v[94:95]
	;; [unrolled: 1-line block ×3, first 2 shown]
	v_mul_f64 v[140:141], v[62:63], s[48:49]
	scratch_store_b64 off, v[0:1], off offset:888 ; 8-byte Folded Spill
	v_add_f64 v[0:1], v[244:245], v[128:129]
	v_mul_f64 v[128:129], v[56:57], s[30:31]
	scratch_store_b64 off, v[0:1], off offset:880 ; 8-byte Folded Spill
	v_add_f64 v[0:1], v[246:247], v[90:91]
	v_add_f64 v[90:91], v[246:247], v[104:105]
	;; [unrolled: 1-line block ×3, first 2 shown]
	v_mul_f64 v[138:139], v[42:43], s[52:53]
	scratch_store_b64 off, v[0:1], off offset:180 ; 8-byte Folded Spill
	v_add_f64 v[0:1], v[244:245], v[134:135]
	v_mul_f64 v[134:135], v[40:41], s[52:53]
	scratch_store_b64 off, v[0:1], off offset:164 ; 8-byte Folded Spill
	v_add_f64 v[0:1], v[246:247], v[78:79]
	scratch_store_b64 off, v[0:1], off offset:148 ; 8-byte Folded Spill
	v_add_f64 v[0:1], v[244:245], v[114:115]
	v_mul_f64 v[114:115], v[34:35], s[46:47]
	scratch_store_b64 off, v[0:1], off offset:132 ; 8-byte Folded Spill
	v_add_f64 v[0:1], v[246:247], v[80:81]
	scratch_store_b64 off, v[0:1], off offset:100 ; 8-byte Folded Spill
	v_add_f64 v[0:1], v[244:245], v[116:117]
	v_mul_f64 v[116:117], v[32:33], s[46:47]
	scratch_store_b64 off, v[0:1], off offset:84 ; 8-byte Folded Spill
	v_add_f64 v[0:1], v[246:247], v[6:7]
	v_mul_f64 v[246:247], v[66:67], s[26:27]
	scratch_store_b64 off, v[0:1], off offset:68 ; 8-byte Folded Spill
	v_add_f64 v[0:1], v[244:245], v[8:9]
	v_mul_f64 v[8:9], v[96:97], s[46:47]
	v_mul_f64 v[244:245], v[73:74], s[42:43]
	scratch_store_b64 off, v[0:1], off offset:36 ; 8-byte Folded Spill
	v_fma_f64 v[4:5], v[52:53], s[22:23], v[8:9]
	v_fma_f64 v[8:9], v[52:53], s[22:23], -v[8:9]
	s_delay_alu instid0(VALU_DEP_2) | instskip(SKIP_1) | instid1(VALU_DEP_3)
	v_add_f64 v[4:5], v[4:5], v[12:13]
	v_mul_f64 v[12:13], v[73:74], s[46:47]
	v_add_f64 v[8:9], v[8:9], v[118:119]
	s_delay_alu instid0(VALU_DEP_3) | instskip(NEXT) | instid1(VALU_DEP_3)
	v_add_f64 v[4:5], v[76:77], v[4:5]
	v_fma_f64 v[6:7], v[54:55], s[22:23], -v[12:13]
	v_mul_f64 v[76:77], v[64:65], s[34:35]
	v_fma_f64 v[12:13], v[54:55], s[22:23], v[12:13]
	s_delay_alu instid0(VALU_DEP_3) | instskip(NEXT) | instid1(VALU_DEP_3)
	v_add_f64 v[6:7], v[6:7], v[82:83]
	v_fma_f64 v[78:79], v[44:45], s[2:3], -v[76:77]
	s_delay_alu instid0(VALU_DEP_3) | instskip(SKIP_2) | instid1(VALU_DEP_4)
	v_add_f64 v[10:11], v[12:13], v[10:11]
	v_fma_f64 v[12:13], v[46:47], s[2:3], -v[14:15]
	v_fma_f64 v[14:15], v[132:133], s[16:17], v[168:169]
	v_add_f64 v[6:7], v[78:79], v[6:7]
	v_mul_f64 v[78:79], v[62:63], s[38:39]
	s_delay_alu instid0(VALU_DEP_4) | instskip(SKIP_2) | instid1(VALU_DEP_4)
	v_add_f64 v[8:9], v[12:13], v[8:9]
	v_fma_f64 v[12:13], v[44:45], s[2:3], v[76:77]
	v_mul_f64 v[76:77], v[96:97], s[52:53]
	v_fma_f64 v[80:81], v[38:39], s[20:21], v[78:79]
	s_delay_alu instid0(VALU_DEP_3) | instskip(SKIP_2) | instid1(VALU_DEP_4)
	v_add_f64 v[10:11], v[12:13], v[10:11]
	v_fma_f64 v[12:13], v[38:39], s[20:21], -v[78:79]
	v_mul_f64 v[78:79], v[73:74], s[52:53]
	v_add_f64 v[4:5], v[80:81], v[4:5]
	v_mul_f64 v[80:81], v[60:61], s[38:39]
	s_delay_alu instid0(VALU_DEP_4) | instskip(NEXT) | instid1(VALU_DEP_2)
	v_add_f64 v[8:9], v[12:13], v[8:9]
	v_fma_f64 v[82:83], v[36:37], s[20:21], -v[80:81]
	v_fma_f64 v[12:13], v[36:37], s[20:21], v[80:81]
	v_mul_f64 v[80:81], v[66:67], s[42:43]
	s_delay_alu instid0(VALU_DEP_3) | instskip(SKIP_1) | instid1(VALU_DEP_4)
	v_add_f64 v[6:7], v[82:83], v[6:7]
	v_mul_f64 v[82:83], v[58:59], s[26:27]
	v_add_f64 v[10:11], v[12:13], v[10:11]
	s_delay_alu instid0(VALU_DEP_2) | instskip(SKIP_3) | instid1(VALU_DEP_4)
	v_fma_f64 v[154:155], v[30:31], s[8:9], v[82:83]
	v_fma_f64 v[12:13], v[30:31], s[8:9], -v[82:83]
	v_fma_f64 v[82:83], v[46:47], s[16:17], v[80:81]
	v_fma_f64 v[80:81], v[46:47], s[16:17], -v[80:81]
	v_add_f64 v[4:5], v[154:155], v[4:5]
	v_mul_f64 v[154:155], v[56:57], s[26:27]
	v_add_f64 v[8:9], v[12:13], v[8:9]
	s_delay_alu instid0(VALU_DEP_2) | instskip(SKIP_1) | instid1(VALU_DEP_2)
	v_fma_f64 v[156:157], v[28:29], s[8:9], -v[154:155]
	v_fma_f64 v[12:13], v[28:29], s[8:9], v[154:155]
	v_add_f64 v[6:7], v[156:157], v[6:7]
	v_mul_f64 v[156:157], v[50:51], s[52:53]
	s_delay_alu instid0(VALU_DEP_3) | instskip(NEXT) | instid1(VALU_DEP_2)
	v_add_f64 v[10:11], v[12:13], v[10:11]
	v_fma_f64 v[158:159], v[26:27], s[18:19], v[156:157]
	v_fma_f64 v[12:13], v[26:27], s[18:19], -v[156:157]
	s_delay_alu instid0(VALU_DEP_2) | instskip(SKIP_1) | instid1(VALU_DEP_3)
	v_add_f64 v[4:5], v[158:159], v[4:5]
	v_mul_f64 v[158:159], v[48:49], s[52:53]
	v_add_f64 v[8:9], v[12:13], v[8:9]
	s_delay_alu instid0(VALU_DEP_2) | instskip(SKIP_1) | instid1(VALU_DEP_2)
	v_fma_f64 v[160:161], v[24:25], s[18:19], -v[158:159]
	v_fma_f64 v[12:13], v[24:25], s[18:19], v[158:159]
	v_add_f64 v[6:7], v[160:161], v[6:7]
	v_mul_f64 v[160:161], v[42:43], s[54:55]
	s_delay_alu instid0(VALU_DEP_3) | instskip(NEXT) | instid1(VALU_DEP_2)
	v_add_f64 v[10:11], v[12:13], v[10:11]
	v_fma_f64 v[162:163], v[22:23], s[14:15], v[160:161]
	v_fma_f64 v[12:13], v[22:23], s[14:15], -v[160:161]
	s_delay_alu instid0(VALU_DEP_2) | instskip(SKIP_1) | instid1(VALU_DEP_3)
	v_add_f64 v[4:5], v[162:163], v[4:5]
	v_mul_f64 v[162:163], v[40:41], s[54:55]
	v_add_f64 v[8:9], v[12:13], v[8:9]
	s_delay_alu instid0(VALU_DEP_2) | instskip(SKIP_1) | instid1(VALU_DEP_2)
	v_fma_f64 v[164:165], v[20:21], s[14:15], -v[162:163]
	v_fma_f64 v[12:13], v[20:21], s[14:15], v[162:163]
	v_add_f64 v[164:165], v[164:165], v[6:7]
	v_fma_f64 v[6:7], v[130:131], s[16:17], v[166:167]
	s_delay_alu instid0(VALU_DEP_3) | instskip(SKIP_2) | instid1(VALU_DEP_4)
	v_add_f64 v[12:13], v[12:13], v[10:11]
	v_fma_f64 v[10:11], v[130:131], s[16:17], -v[166:167]
	v_mul_f64 v[166:167], v[32:33], s[54:55]
	v_add_f64 v[2:3], v[6:7], v[4:5]
	v_fma_f64 v[4:5], v[132:133], s[16:17], -v[168:169]
	v_mul_f64 v[168:169], v[34:35], s[54:55]
	s_delay_alu instid0(VALU_DEP_2)
	v_add_f64 v[0:1], v[4:5], v[164:165]
	v_mul_f64 v[4:5], v[62:63], s[46:47]
	scratch_store_b128 off, v[0:3], off offset:20 ; 16-byte Folded Spill
	v_add_f64 v[0:1], v[14:15], v[12:13]
	v_fma_f64 v[12:13], v[52:53], s[18:19], v[76:77]
	v_fma_f64 v[14:15], v[54:55], s[18:19], -v[78:79]
	v_fma_f64 v[76:77], v[52:53], s[18:19], -v[76:77]
	v_fma_f64 v[78:79], v[54:55], s[18:19], v[78:79]
	v_add_f64 v[2:3], v[10:11], v[8:9]
	v_mul_f64 v[8:9], v[60:61], s[46:47]
	v_fma_f64 v[10:11], v[20:21], s[8:9], v[16:17]
	v_add_f64 v[12:13], v[12:13], v[84:85]
	v_add_f64 v[14:15], v[14:15], v[124:125]
	;; [unrolled: 1-line block ×4, first 2 shown]
	scratch_store_b128 off, v[0:3], off offset:52 ; 16-byte Folded Spill
	v_add_f64 v[12:13], v[82:83], v[12:13]
	v_mul_f64 v[82:83], v[64:65], s[42:43]
	v_add_f64 v[76:77], v[80:81], v[76:77]
	s_delay_alu instid0(VALU_DEP_2) | instskip(SKIP_2) | instid1(VALU_DEP_3)
	v_fma_f64 v[84:85], v[44:45], s[16:17], -v[82:83]
	v_fma_f64 v[80:81], v[44:45], s[16:17], v[82:83]
	v_fma_f64 v[82:83], v[132:133], s[14:15], v[168:169]
	v_add_f64 v[14:15], v[84:85], v[14:15]
	v_mul_f64 v[84:85], v[62:63], s[44:45]
	s_delay_alu instid0(VALU_DEP_4) | instskip(NEXT) | instid1(VALU_DEP_2)
	v_add_f64 v[78:79], v[80:81], v[78:79]
	v_fma_f64 v[118:119], v[38:39], s[8:9], v[84:85]
	v_fma_f64 v[80:81], v[38:39], s[8:9], -v[84:85]
	s_delay_alu instid0(VALU_DEP_2) | instskip(SKIP_1) | instid1(VALU_DEP_3)
	v_add_f64 v[12:13], v[118:119], v[12:13]
	v_mul_f64 v[118:119], v[60:61], s[44:45]
	v_add_f64 v[76:77], v[80:81], v[76:77]
	s_delay_alu instid0(VALU_DEP_2) | instskip(SKIP_2) | instid1(VALU_DEP_3)
	v_fma_f64 v[124:125], v[36:37], s[8:9], -v[118:119]
	v_fma_f64 v[80:81], v[36:37], s[8:9], v[118:119]
	v_mul_f64 v[118:119], v[96:97], s[48:49]
	v_add_f64 v[14:15], v[124:125], v[14:15]
	v_mul_f64 v[124:125], v[58:59], s[24:25]
	s_delay_alu instid0(VALU_DEP_4) | instskip(NEXT) | instid1(VALU_DEP_2)
	v_add_f64 v[78:79], v[80:81], v[78:79]
	v_fma_f64 v[154:155], v[30:31], s[22:23], v[124:125]
	v_fma_f64 v[80:81], v[30:31], s[22:23], -v[124:125]
	v_mul_f64 v[124:125], v[73:74], s[48:49]
	s_delay_alu instid0(VALU_DEP_3) | instskip(SKIP_1) | instid1(VALU_DEP_4)
	v_add_f64 v[12:13], v[154:155], v[12:13]
	v_mul_f64 v[154:155], v[56:57], s[24:25]
	v_add_f64 v[76:77], v[80:81], v[76:77]
	s_delay_alu instid0(VALU_DEP_2) | instskip(SKIP_2) | instid1(VALU_DEP_3)
	v_fma_f64 v[156:157], v[28:29], s[22:23], -v[154:155]
	v_fma_f64 v[80:81], v[28:29], s[22:23], v[154:155]
	v_mul_f64 v[154:155], v[62:63], s[34:35]
	v_add_f64 v[14:15], v[156:157], v[14:15]
	v_mul_f64 v[156:157], v[50:51], s[28:29]
	s_delay_alu instid0(VALU_DEP_4) | instskip(NEXT) | instid1(VALU_DEP_2)
	v_add_f64 v[78:79], v[80:81], v[78:79]
	v_fma_f64 v[158:159], v[26:27], s[0:1], v[156:157]
	v_fma_f64 v[80:81], v[26:27], s[0:1], -v[156:157]
	v_mul_f64 v[156:157], v[60:61], s[34:35]
	s_delay_alu instid0(VALU_DEP_3) | instskip(SKIP_1) | instid1(VALU_DEP_4)
	;; [unrolled: 15-line block ×3, first 2 shown]
	v_add_f64 v[12:13], v[162:163], v[12:13]
	v_mul_f64 v[162:163], v[40:41], s[38:39]
	v_add_f64 v[76:77], v[80:81], v[76:77]
	s_delay_alu instid0(VALU_DEP_2) | instskip(SKIP_2) | instid1(VALU_DEP_3)
	v_fma_f64 v[164:165], v[20:21], s[20:21], -v[162:163]
	v_fma_f64 v[80:81], v[20:21], s[20:21], v[162:163]
	v_mul_f64 v[162:163], v[50:51], s[56:57]
	v_add_f64 v[164:165], v[164:165], v[14:15]
	v_fma_f64 v[14:15], v[130:131], s[14:15], v[166:167]
	s_delay_alu instid0(VALU_DEP_4) | instskip(SKIP_2) | instid1(VALU_DEP_4)
	v_add_f64 v[80:81], v[80:81], v[78:79]
	v_fma_f64 v[78:79], v[130:131], s[14:15], -v[166:167]
	v_mul_f64 v[166:167], v[42:43], s[28:29]
	v_add_f64 v[2:3], v[14:15], v[12:13]
	v_fma_f64 v[12:13], v[132:133], s[14:15], -v[168:169]
	v_mul_f64 v[168:169], v[40:41], s[28:29]
	s_delay_alu instid0(VALU_DEP_2)
	v_add_f64 v[0:1], v[12:13], v[164:165]
	v_mul_f64 v[164:165], v[48:49], s[56:57]
	v_dual_mov_b32 v12, v100 :: v_dual_mov_b32 v13, v101
	v_dual_mov_b32 v14, v102 :: v_dual_mov_b32 v15, v103
	v_mul_f64 v[100:101], v[58:59], s[30:31]
	v_mul_f64 v[58:59], v[58:59], s[28:29]
	scratch_store_b128 off, v[0:3], off offset:116 ; 16-byte Folded Spill
	v_add_f64 v[0:1], v[82:83], v[80:81]
	v_fma_f64 v[82:83], v[54:55], s[14:15], -v[124:125]
	v_fma_f64 v[80:81], v[52:53], s[14:15], v[118:119]
	v_add_f64 v[2:3], v[78:79], v[76:77]
	v_mul_f64 v[78:79], v[42:43], s[42:43]
	v_mul_f64 v[76:77], v[40:41], s[42:43]
	v_fma_f64 v[102:103], v[30:31], s[18:19], -v[100:101]
	v_add_f64 v[82:83], v[82:83], v[126:127]
	v_mul_f64 v[126:127], v[66:67], s[24:25]
	v_add_f64 v[80:81], v[80:81], v[86:87]
	scratch_store_b128 off, v[0:3], off offset:196 ; 16-byte Folded Spill
	v_mul_f64 v[0:1], v[96:97], s[56:57]
	v_mul_f64 v[2:3], v[48:49], s[34:35]
	v_fma_f64 v[84:85], v[46:47], s[22:23], v[126:127]
	scratch_store_b64 off, v[0:1], off offset:912 ; 8-byte Folded Spill
	v_fma_f64 v[6:7], v[24:25], s[2:3], v[2:3]
	v_fma_f64 v[2:3], v[24:25], s[2:3], -v[2:3]
	v_add_f64 v[80:81], v[84:85], v[80:81]
	v_fma_f64 v[84:85], v[44:45], s[22:23], -v[146:147]
	s_delay_alu instid0(VALU_DEP_1) | instskip(SKIP_1) | instid1(VALU_DEP_1)
	v_add_f64 v[82:83], v[84:85], v[82:83]
	v_fma_f64 v[84:85], v[38:39], s[2:3], v[154:155]
	v_add_f64 v[80:81], v[84:85], v[80:81]
	v_fma_f64 v[84:85], v[36:37], s[2:3], -v[156:157]
	s_delay_alu instid0(VALU_DEP_1) | instskip(SKIP_1) | instid1(VALU_DEP_1)
	v_add_f64 v[82:83], v[84:85], v[82:83]
	v_fma_f64 v[84:85], v[30:31], s[16:17], v[158:159]
	;; [unrolled: 5-line block ×5, first 2 shown]
	v_add_f64 v[184:185], v[82:83], v[80:81]
	v_fma_f64 v[80:81], v[132:133], s[18:19], -v[172:173]
	v_mul_f64 v[82:83], v[60:61], s[48:49]
	s_delay_alu instid0(VALU_DEP_2) | instskip(SKIP_4) | instid1(VALU_DEP_4)
	v_add_f64 v[182:183], v[80:81], v[84:85]
	v_fma_f64 v[84:85], v[52:53], s[20:21], -v[0:1]
	v_mul_f64 v[0:1], v[73:74], s[56:57]
	v_mul_f64 v[80:81], v[56:57], s[38:39]
	;; [unrolled: 1-line block ×3, first 2 shown]
	v_add_f64 v[84:85], v[84:85], v[90:91]
	scratch_store_b64 off, v[0:1], off offset:920 ; 8-byte Folded Spill
	v_fma_f64 v[86:87], v[54:55], s[20:21], v[0:1]
	v_mul_f64 v[0:1], v[66:67], s[30:31]
	s_delay_alu instid0(VALU_DEP_2) | instskip(SKIP_4) | instid1(VALU_DEP_3)
	v_add_f64 v[86:87], v[86:87], v[94:95]
	scratch_store_b64 off, v[0:1], off offset:928 ; 8-byte Folded Spill
	v_fma_f64 v[90:91], v[46:47], s[18:19], -v[0:1]
	v_mul_f64 v[0:1], v[64:65], s[30:31]
	v_fma_f64 v[94:95], v[46:47], s[8:9], -v[246:247]
	v_add_f64 v[84:85], v[90:91], v[84:85]
	scratch_store_b64 off, v[0:1], off offset:936 ; 8-byte Folded Spill
	v_fma_f64 v[90:91], v[44:45], s[18:19], v[0:1]
	v_mul_f64 v[0:1], v[62:63], s[42:43]
	v_mul_f64 v[62:63], v[62:63], s[30:31]
	s_delay_alu instid0(VALU_DEP_3) | instskip(SKIP_4) | instid1(VALU_DEP_3)
	v_add_f64 v[86:87], v[90:91], v[86:87]
	scratch_store_b64 off, v[0:1], off offset:944 ; 8-byte Folded Spill
	v_fma_f64 v[90:91], v[38:39], s[16:17], -v[0:1]
	v_mul_f64 v[0:1], v[60:61], s[42:43]
	v_mul_f64 v[60:61], v[60:61], s[30:31]
	v_add_f64 v[84:85], v[90:91], v[84:85]
	s_delay_alu instid0(VALU_DEP_3) | instskip(SKIP_4) | instid1(VALU_DEP_1)
	v_fma_f64 v[90:91], v[36:37], s[16:17], v[0:1]
	scratch_store_b64 off, v[0:1], off offset:952 ; 8-byte Folded Spill
	v_mul_f64 v[0:1], v[50:51], s[34:35]
	v_add_f64 v[86:87], v[90:91], v[86:87]
	v_fma_f64 v[90:91], v[30:31], s[14:15], -v[186:187]
	v_add_f64 v[84:85], v[90:91], v[84:85]
	v_fma_f64 v[90:91], v[28:29], s[14:15], v[188:189]
	s_delay_alu instid0(VALU_DEP_1) | instskip(SKIP_1) | instid1(VALU_DEP_1)
	v_add_f64 v[86:87], v[90:91], v[86:87]
	v_fma_f64 v[90:91], v[26:27], s[8:9], -v[190:191]
	v_add_f64 v[84:85], v[90:91], v[84:85]
	v_fma_f64 v[90:91], v[24:25], s[8:9], v[192:193]
	s_delay_alu instid0(VALU_DEP_1) | instskip(SKIP_1) | instid1(VALU_DEP_1)
	;; [unrolled: 5-line block ×3, first 2 shown]
	v_add_f64 v[90:91], v[90:91], v[86:87]
	v_fma_f64 v[86:87], v[130:131], s[0:1], -v[210:211]
	v_add_f64 v[180:181], v[86:87], v[84:85]
	v_fma_f64 v[84:85], v[132:133], s[0:1], v[240:241]
	v_mul_f64 v[86:87], v[48:49], s[24:25]
	v_mul_f64 v[48:49], v[48:49], s[36:37]
	s_delay_alu instid0(VALU_DEP_3) | instskip(SKIP_2) | instid1(VALU_DEP_2)
	v_add_f64 v[178:179], v[84:85], v[90:91]
	v_fma_f64 v[90:91], v[52:53], s[16:17], -v[242:243]
	v_mul_f64 v[84:85], v[32:33], s[34:35]
	v_add_f64 v[88:89], v[90:91], v[88:89]
	v_fma_f64 v[90:91], v[54:55], s[16:17], v[244:245]
	s_delay_alu instid0(VALU_DEP_2) | instskip(NEXT) | instid1(VALU_DEP_2)
	v_add_f64 v[88:89], v[94:95], v[88:89]
	v_add_f64 v[90:91], v[90:91], v[104:105]
	v_fma_f64 v[94:95], v[44:45], s[8:9], v[248:249]
	s_delay_alu instid0(VALU_DEP_1) | instskip(SKIP_1) | instid1(VALU_DEP_1)
	v_add_f64 v[90:91], v[94:95], v[90:91]
	v_fma_f64 v[94:95], v[38:39], s[0:1], -v[250:251]
	v_add_f64 v[88:89], v[94:95], v[88:89]
	v_fma_f64 v[94:95], v[36:37], s[0:1], v[252:253]
	s_delay_alu instid0(VALU_DEP_1) | instskip(SKIP_1) | instid1(VALU_DEP_1)
	v_add_f64 v[90:91], v[94:95], v[90:91]
	v_fma_f64 v[94:95], v[30:31], s[2:3], -v[254:255]
	;; [unrolled: 5-line block ×5, first 2 shown]
	v_add_f64 v[144:145], v[90:91], v[88:89]
	v_fma_f64 v[88:89], v[132:133], s[22:23], v[114:115]
	v_mul_f64 v[90:91], v[34:35], s[34:35]
	s_delay_alu instid0(VALU_DEP_2) | instskip(SKIP_3) | instid1(VALU_DEP_3)
	v_add_f64 v[142:143], v[88:89], v[94:95]
	v_fma_f64 v[94:95], v[52:53], s[8:9], -v[108:109]
	v_mul_f64 v[88:89], v[50:51], s[24:25]
	v_mul_f64 v[50:51], v[50:51], s[36:37]
	v_add_f64 v[92:93], v[94:95], v[92:93]
	v_fma_f64 v[94:95], v[54:55], s[8:9], v[212:213]
	s_delay_alu instid0(VALU_DEP_1) | instskip(SKIP_1) | instid1(VALU_DEP_1)
	v_add_f64 v[94:95], v[94:95], v[136:137]
	v_mul_f64 v[136:137], v[66:67], s[50:51]
	v_fma_f64 v[104:105], v[46:47], s[0:1], -v[136:137]
	s_delay_alu instid0(VALU_DEP_1) | instskip(SKIP_1) | instid1(VALU_DEP_1)
	v_add_f64 v[92:93], v[104:105], v[92:93]
	v_fma_f64 v[104:105], v[44:45], s[0:1], v[214:215]
	v_add_f64 v[94:95], v[104:105], v[94:95]
	v_fma_f64 v[104:105], v[38:39], s[14:15], -v[140:141]
	s_delay_alu instid0(VALU_DEP_1) | instskip(SKIP_1) | instid1(VALU_DEP_1)
	v_add_f64 v[92:93], v[104:105], v[92:93]
	v_fma_f64 v[104:105], v[36:37], s[14:15], v[82:83]
	v_add_f64 v[94:95], v[104:105], v[94:95]
	;; [unrolled: 5-line block ×6, first 2 shown]
	v_fma_f64 v[104:105], v[52:53], s[0:1], -v[18:19]
	s_delay_alu instid0(VALU_DEP_1) | instskip(SKIP_3) | instid1(VALU_DEP_3)
	v_add_f64 v[104:105], v[104:105], v[152:153]
	v_mul_f64 v[152:153], v[73:74], s[28:29]
	v_mul_f64 v[72:73], v[73:74], s[40:41]
	;; [unrolled: 1-line block ×3, first 2 shown]
	v_fma_f64 v[106:107], v[54:55], s[0:1], v[152:153]
	s_delay_alu instid0(VALU_DEP_1) | instskip(SKIP_2) | instid1(VALU_DEP_2)
	v_add_f64 v[106:107], v[106:107], v[112:113]
	v_mul_f64 v[112:113], v[66:67], s[48:49]
	v_mul_f64 v[66:67], v[66:67], s[38:39]
	v_fma_f64 v[238:239], v[46:47], s[14:15], -v[112:113]
	s_delay_alu instid0(VALU_DEP_1) | instskip(SKIP_2) | instid1(VALU_DEP_2)
	v_add_f64 v[104:105], v[238:239], v[104:105]
	v_mul_f64 v[238:239], v[64:65], s[48:49]
	v_mul_f64 v[64:65], v[64:65], s[38:39]
	v_fma_f64 v[68:69], v[44:45], s[14:15], v[238:239]
	s_delay_alu instid0(VALU_DEP_1) | instskip(SKIP_2) | instid1(VALU_DEP_2)
	v_add_f64 v[68:69], v[68:69], v[106:107]
	v_fma_f64 v[106:107], v[38:39], s[22:23], -v[4:5]
	v_fma_f64 v[4:5], v[38:39], s[22:23], v[4:5]
	v_add_f64 v[104:105], v[106:107], v[104:105]
	v_fma_f64 v[106:107], v[36:37], s[22:23], v[8:9]
	v_fma_f64 v[8:9], v[36:37], s[22:23], -v[8:9]
	s_delay_alu instid0(VALU_DEP_3) | instskip(NEXT) | instid1(VALU_DEP_3)
	v_add_f64 v[102:103], v[102:103], v[104:105]
	v_add_f64 v[68:69], v[106:107], v[68:69]
	v_fma_f64 v[104:105], v[28:29], s[18:19], v[128:129]
	s_delay_alu instid0(VALU_DEP_1) | instskip(SKIP_1) | instid1(VALU_DEP_2)
	v_add_f64 v[68:69], v[104:105], v[68:69]
	v_fma_f64 v[104:105], v[26:27], s[2:3], -v[0:1]
	v_add_f64 v[6:7], v[6:7], v[68:69]
	v_mul_f64 v[68:69], v[42:43], s[44:45]
	s_delay_alu instid0(VALU_DEP_3) | instskip(NEXT) | instid1(VALU_DEP_3)
	v_add_f64 v[102:103], v[104:105], v[102:103]
	v_add_f64 v[6:7], v[10:11], v[6:7]
	s_delay_alu instid0(VALU_DEP_3) | instskip(SKIP_1) | instid1(VALU_DEP_2)
	v_fma_f64 v[104:105], v[22:23], s[8:9], -v[68:69]
	v_mul_f64 v[10:11], v[32:33], s[38:39]
	v_add_f64 v[102:103], v[104:105], v[102:103]
	s_delay_alu instid0(VALU_DEP_2) | instskip(NEXT) | instid1(VALU_DEP_1)
	v_fma_f64 v[104:105], v[130:131], s[20:21], -v[10:11]
	v_add_f64 v[106:107], v[104:105], v[102:103]
	v_mul_f64 v[102:103], v[34:35], s[38:39]
	s_delay_alu instid0(VALU_DEP_1) | instskip(NEXT) | instid1(VALU_DEP_1)
	v_fma_f64 v[104:105], v[132:133], s[20:21], v[102:103]
	v_add_f64 v[104:105], v[104:105], v[6:7]
	v_mul_f64 v[6:7], v[96:97], s[40:41]
	s_delay_alu instid0(VALU_DEP_1) | instskip(SKIP_1) | instid1(VALU_DEP_2)
	v_fma_f64 v[96:97], v[52:53], s[2:3], -v[6:7]
	v_fma_f64 v[6:7], v[52:53], s[2:3], v[6:7]
	v_add_f64 v[96:97], v[96:97], v[148:149]
	v_fma_f64 v[148:149], v[54:55], s[2:3], v[72:73]
	v_fma_f64 v[72:73], v[54:55], s[2:3], -v[72:73]
	s_delay_alu instid0(VALU_DEP_2) | instskip(SKIP_2) | instid1(VALU_DEP_2)
	v_add_f64 v[70:71], v[148:149], v[70:71]
	v_fma_f64 v[148:149], v[46:47], s[20:21], -v[66:67]
	v_fma_f64 v[66:67], v[46:47], s[20:21], v[66:67]
	v_add_f64 v[96:97], v[148:149], v[96:97]
	v_fma_f64 v[148:149], v[44:45], s[20:21], v[64:65]
	v_fma_f64 v[64:65], v[44:45], s[20:21], -v[64:65]
	s_delay_alu instid0(VALU_DEP_2) | instskip(SKIP_2) | instid1(VALU_DEP_2)
	v_add_f64 v[70:71], v[148:149], v[70:71]
	;; [unrolled: 7-line block ×4, first 2 shown]
	v_fma_f64 v[148:149], v[26:27], s[16:17], -v[50:51]
	v_fma_f64 v[50:51], v[26:27], s[16:17], v[50:51]
	v_add_f64 v[96:97], v[148:149], v[96:97]
	v_fma_f64 v[148:149], v[24:25], s[16:17], v[48:49]
	v_fma_f64 v[48:49], v[24:25], s[16:17], -v[48:49]
	s_delay_alu instid0(VALU_DEP_2) | instskip(SKIP_1) | instid1(VALU_DEP_1)
	v_add_f64 v[70:71], v[148:149], v[70:71]
	v_mul_f64 v[148:149], v[42:43], s[24:25]
	v_fma_f64 v[42:43], v[22:23], s[22:23], -v[148:149]
	s_delay_alu instid0(VALU_DEP_1) | instskip(SKIP_1) | instid1(VALU_DEP_1)
	v_add_f64 v[42:43], v[42:43], v[96:97]
	v_mul_f64 v[96:97], v[40:41], s[24:25]
	v_fma_f64 v[40:41], v[20:21], s[22:23], v[96:97]
	s_delay_alu instid0(VALU_DEP_1) | instskip(SKIP_1) | instid1(VALU_DEP_1)
	v_add_f64 v[40:41], v[40:41], v[70:71]
	v_mul_f64 v[70:71], v[32:33], s[26:27]
	v_fma_f64 v[32:33], v[130:131], s[8:9], -v[70:71]
	s_delay_alu instid0(VALU_DEP_1)
	v_add_f64 v[34:35], v[32:33], v[42:43]
	v_fma_f64 v[32:33], v[132:133], s[8:9], v[74:75]
	scratch_load_b64 v[42:43], off, off offset:904 ; 8-byte Folded Reload
	v_add_f64 v[32:33], v[32:33], v[40:41]
	v_fma_f64 v[40:41], v[52:53], s[14:15], -v[118:119]
	scratch_load_b64 v[118:119], off, off offset:896 ; 8-byte Folded Reload
	s_waitcnt vmcnt(1)
	v_add_f64 v[40:41], v[40:41], v[42:43]
	v_fma_f64 v[42:43], v[54:55], s[14:15], v[124:125]
	v_fma_f64 v[124:125], v[132:133], s[18:19], v[172:173]
	s_waitcnt vmcnt(0)
	s_delay_alu instid0(VALU_DEP_2) | instskip(SKIP_1) | instid1(VALU_DEP_1)
	v_add_f64 v[42:43], v[42:43], v[118:119]
	v_fma_f64 v[118:119], v[46:47], s[22:23], -v[126:127]
	v_add_f64 v[40:41], v[118:119], v[40:41]
	v_fma_f64 v[118:119], v[44:45], s[22:23], v[146:147]
	s_delay_alu instid0(VALU_DEP_1) | instskip(SKIP_1) | instid1(VALU_DEP_1)
	v_add_f64 v[42:43], v[118:119], v[42:43]
	v_fma_f64 v[118:119], v[38:39], s[2:3], -v[154:155]
	v_add_f64 v[40:41], v[118:119], v[40:41]
	v_fma_f64 v[118:119], v[36:37], s[2:3], v[156:157]
	s_delay_alu instid0(VALU_DEP_1) | instskip(SKIP_1) | instid1(VALU_DEP_1)
	;; [unrolled: 5-line block ×5, first 2 shown]
	v_add_f64 v[118:119], v[118:119], v[42:43]
	v_fma_f64 v[42:43], v[130:131], s[18:19], -v[170:171]
	v_add_f64 v[42:43], v[42:43], v[40:41]
	s_delay_alu instid0(VALU_DEP_3)
	v_add_f64 v[40:41], v[124:125], v[118:119]
	scratch_load_b64 v[118:119], off, off offset:888 ; 8-byte Folded Reload
	s_waitcnt vmcnt(0)
	v_add_f64 v[6:7], v[6:7], v[118:119]
	scratch_load_b64 v[118:119], off, off offset:880 ; 8-byte Folded Reload
	v_add_f64 v[6:7], v[66:67], v[6:7]
	s_delay_alu instid0(VALU_DEP_1) | instskip(NEXT) | instid1(VALU_DEP_1)
	v_add_f64 v[6:7], v[62:63], v[6:7]
	v_add_f64 v[6:7], v[58:59], v[6:7]
	s_delay_alu instid0(VALU_DEP_1) | instskip(SKIP_1) | instid1(VALU_DEP_1)
	v_add_f64 v[6:7], v[50:51], v[6:7]
	v_fma_f64 v[50:51], v[22:23], s[22:23], v[148:149]
	v_add_f64 v[6:7], v[50:51], v[6:7]
	v_fma_f64 v[50:51], v[20:21], s[22:23], -v[96:97]
	s_waitcnt vmcnt(0)
	v_add_f64 v[72:73], v[72:73], v[118:119]
	s_delay_alu instid0(VALU_DEP_1) | instskip(NEXT) | instid1(VALU_DEP_1)
	v_add_f64 v[64:65], v[64:65], v[72:73]
	v_add_f64 v[60:61], v[60:61], v[64:65]
	s_delay_alu instid0(VALU_DEP_1) | instskip(NEXT) | instid1(VALU_DEP_1)
	v_add_f64 v[56:57], v[56:57], v[60:61]
	v_add_f64 v[48:49], v[48:49], v[56:57]
	v_fma_f64 v[56:57], v[132:133], s[8:9], -v[74:75]
	s_delay_alu instid0(VALU_DEP_2) | instskip(SKIP_1) | instid1(VALU_DEP_2)
	v_add_f64 v[48:49], v[50:51], v[48:49]
	v_fma_f64 v[50:51], v[130:131], s[8:9], v[70:71]
	v_add_f64 v[48:49], v[56:57], v[48:49]
	s_delay_alu instid0(VALU_DEP_2)
	v_add_f64 v[50:51], v[50:51], v[6:7]
	v_fma_f64 v[6:7], v[52:53], s[0:1], v[18:19]
	scratch_load_b64 v[18:19], off, off offset:180 ; 8-byte Folded Reload
	v_fma_f64 v[56:57], v[46:47], s[14:15], v[112:113]
	s_waitcnt vmcnt(0)
	v_add_f64 v[6:7], v[6:7], v[18:19]
	s_delay_alu instid0(VALU_DEP_1) | instskip(SKIP_2) | instid1(VALU_DEP_3)
	v_add_f64 v[6:7], v[56:57], v[6:7]
	v_fma_f64 v[56:57], v[44:45], s[14:15], -v[238:239]
	v_mov_b32_e32 v239, v216
	v_add_f64 v[4:5], v[4:5], v[6:7]
	v_fma_f64 v[6:7], v[30:31], s[18:19], v[100:101]
	s_delay_alu instid0(VALU_DEP_1)
	v_add_f64 v[4:5], v[6:7], v[4:5]
	v_fma_f64 v[6:7], v[26:27], s[2:3], v[0:1]
	scratch_load_b64 v[0:1], off, off offset:164 ; 8-byte Folded Reload
	v_add_f64 v[4:5], v[6:7], v[4:5]
	v_fma_f64 v[6:7], v[54:55], s[0:1], -v[152:153]
	s_waitcnt vmcnt(0)
	s_delay_alu instid0(VALU_DEP_1) | instskip(SKIP_1) | instid1(VALU_DEP_2)
	v_add_f64 v[6:7], v[6:7], v[0:1]
	v_fma_f64 v[0:1], v[20:21], s[8:9], -v[16:17]
	v_add_f64 v[6:7], v[56:57], v[6:7]
	s_delay_alu instid0(VALU_DEP_1) | instskip(SKIP_1) | instid1(VALU_DEP_1)
	v_add_f64 v[6:7], v[8:9], v[6:7]
	v_fma_f64 v[8:9], v[28:29], s[18:19], -v[128:129]
	v_add_f64 v[6:7], v[8:9], v[6:7]
	s_delay_alu instid0(VALU_DEP_1) | instskip(SKIP_1) | instid1(VALU_DEP_2)
	v_add_f64 v[2:3], v[2:3], v[6:7]
	v_fma_f64 v[6:7], v[22:23], s[8:9], v[68:69]
	v_add_f64 v[0:1], v[0:1], v[2:3]
	s_delay_alu instid0(VALU_DEP_2) | instskip(SKIP_4) | instid1(VALU_DEP_4)
	v_add_f64 v[4:5], v[6:7], v[4:5]
	v_fma_f64 v[2:3], v[130:131], s[20:21], v[10:11]
	v_fma_f64 v[6:7], v[132:133], s[20:21], -v[102:103]
	v_dual_mov_b32 v103, v15 :: v_dual_mov_b32 v100, v12
	v_dual_mov_b32 v102, v14 :: v_dual_mov_b32 v101, v13
	v_add_f64 v[58:59], v[2:3], v[4:5]
	scratch_load_b64 v[2:3], off, off offset:148 ; 8-byte Folded Reload
	v_add_f64 v[56:57], v[6:7], v[0:1]
	v_fma_f64 v[0:1], v[52:53], s[8:9], v[108:109]
	v_fma_f64 v[6:7], v[132:133], s[2:3], -v[90:91]
	s_waitcnt vmcnt(0)
	s_delay_alu instid0(VALU_DEP_2)
	v_add_f64 v[0:1], v[0:1], v[2:3]
	v_fma_f64 v[2:3], v[54:55], s[8:9], -v[212:213]
	s_clause 0x2
	scratch_load_b32 v212, off, off
	scratch_load_b64 v[4:5], off, off offset:132
	scratch_load_b64 v[8:9], off, off offset:36
	s_waitcnt vmcnt(1)
	v_add_f64 v[2:3], v[2:3], v[4:5]
	v_fma_f64 v[4:5], v[46:47], s[0:1], v[136:137]
	s_delay_alu instid0(VALU_DEP_1) | instskip(SKIP_1) | instid1(VALU_DEP_1)
	v_add_f64 v[0:1], v[4:5], v[0:1]
	v_fma_f64 v[4:5], v[44:45], s[0:1], -v[214:215]
	v_add_f64 v[2:3], v[4:5], v[2:3]
	v_fma_f64 v[4:5], v[38:39], s[14:15], v[140:141]
	s_delay_alu instid0(VALU_DEP_1) | instskip(SKIP_1) | instid1(VALU_DEP_1)
	v_add_f64 v[0:1], v[4:5], v[0:1]
	v_fma_f64 v[4:5], v[36:37], s[14:15], -v[82:83]
	;; [unrolled: 5-line block ×5, first 2 shown]
	v_add_f64 v[2:3], v[4:5], v[2:3]
	v_fma_f64 v[4:5], v[130:131], s[2:3], v[84:85]
	s_delay_alu instid0(VALU_DEP_2)
	v_add_f64 v[60:61], v[6:7], v[2:3]
	scratch_load_b64 v[2:3], off, off offset:100 ; 8-byte Folded Reload
	v_add_f64 v[62:63], v[4:5], v[0:1]
	scratch_load_b64 v[4:5], off, off offset:84 ; 8-byte Folded Reload
	v_fma_f64 v[0:1], v[52:53], s[16:17], v[242:243]
	v_fma_f64 v[6:7], v[132:133], s[22:23], -v[114:115]
	s_waitcnt vmcnt(1)
	s_delay_alu instid0(VALU_DEP_2) | instskip(SKIP_2) | instid1(VALU_DEP_1)
	v_add_f64 v[0:1], v[0:1], v[2:3]
	v_fma_f64 v[2:3], v[54:55], s[16:17], -v[244:245]
	s_waitcnt vmcnt(0)
	v_add_f64 v[2:3], v[2:3], v[4:5]
	v_fma_f64 v[4:5], v[46:47], s[8:9], v[246:247]
	s_delay_alu instid0(VALU_DEP_1) | instskip(SKIP_1) | instid1(VALU_DEP_1)
	v_add_f64 v[0:1], v[4:5], v[0:1]
	v_fma_f64 v[4:5], v[44:45], s[8:9], -v[248:249]
	v_add_f64 v[2:3], v[4:5], v[2:3]
	v_fma_f64 v[4:5], v[38:39], s[0:1], v[250:251]
	s_delay_alu instid0(VALU_DEP_1) | instskip(SKIP_1) | instid1(VALU_DEP_1)
	v_add_f64 v[0:1], v[4:5], v[0:1]
	v_fma_f64 v[4:5], v[36:37], s[0:1], -v[252:253]
	;; [unrolled: 5-line block ×5, first 2 shown]
	v_add_f64 v[2:3], v[4:5], v[2:3]
	v_fma_f64 v[4:5], v[130:131], s[22:23], v[116:117]
	s_delay_alu instid0(VALU_DEP_2) | instskip(NEXT) | instid1(VALU_DEP_2)
	v_add_f64 v[64:65], v[6:7], v[2:3]
	v_add_f64 v[66:67], v[4:5], v[0:1]
	s_clause 0x3
	scratch_load_b64 v[0:1], off, off offset:912
	scratch_load_b64 v[2:3], off, off offset:920
	scratch_load_b64 v[4:5], off, off offset:928
	scratch_load_b64 v[6:7], off, off offset:68
	s_waitcnt vmcnt(3)
	v_fma_f64 v[0:1], v[52:53], s[20:21], v[0:1]
	s_waitcnt vmcnt(2)
	v_fma_f64 v[2:3], v[54:55], s[20:21], -v[2:3]
	s_waitcnt vmcnt(0)
	s_delay_alu instid0(VALU_DEP_2) | instskip(SKIP_4) | instid1(VALU_DEP_1)
	v_add_f64 v[0:1], v[0:1], v[6:7]
	scratch_load_b64 v[6:7], off, off offset:936 ; 8-byte Folded Reload
	v_add_f64 v[2:3], v[2:3], v[8:9]
	scratch_load_b64 v[8:9], off, off offset:944 ; 8-byte Folded Reload
	v_fma_f64 v[4:5], v[46:47], s[18:19], v[4:5]
	v_add_f64 v[0:1], v[4:5], v[0:1]
	scratch_load_b64 v[4:5], off, off offset:952 ; 8-byte Folded Reload
	s_waitcnt vmcnt(2)
	v_fma_f64 v[6:7], v[44:45], s[18:19], -v[6:7]
	s_waitcnt vmcnt(1)
	v_fma_f64 v[8:9], v[38:39], s[16:17], v[8:9]
	s_delay_alu instid0(VALU_DEP_2) | instskip(SKIP_1) | instid1(VALU_DEP_3)
	v_add_f64 v[2:3], v[6:7], v[2:3]
	v_fma_f64 v[6:7], v[30:31], s[14:15], v[186:187]
	v_add_f64 v[0:1], v[8:9], v[0:1]
	v_fma_f64 v[8:9], v[28:29], s[14:15], -v[188:189]
	s_waitcnt vmcnt(0)
	v_fma_f64 v[4:5], v[36:37], s[16:17], -v[4:5]
	s_delay_alu instid0(VALU_DEP_3) | instskip(SKIP_1) | instid1(VALU_DEP_3)
	v_add_f64 v[0:1], v[6:7], v[0:1]
	v_fma_f64 v[6:7], v[24:25], s[8:9], -v[192:193]
	v_add_f64 v[2:3], v[4:5], v[2:3]
	v_fma_f64 v[4:5], v[26:27], s[8:9], v[190:191]
	s_delay_alu instid0(VALU_DEP_2) | instskip(SKIP_1) | instid1(VALU_DEP_3)
	v_add_f64 v[2:3], v[8:9], v[2:3]
	v_fma_f64 v[8:9], v[22:23], s[2:3], v[194:195]
	v_add_f64 v[0:1], v[4:5], v[0:1]
	v_fma_f64 v[4:5], v[20:21], s[2:3], -v[208:209]
	s_delay_alu instid0(VALU_DEP_4) | instskip(SKIP_1) | instid1(VALU_DEP_4)
	v_add_f64 v[2:3], v[6:7], v[2:3]
	v_fma_f64 v[6:7], v[130:131], s[0:1], v[210:211]
	v_add_f64 v[0:1], v[8:9], v[0:1]
	v_fma_f64 v[8:9], v[132:133], s[0:1], -v[240:241]
	s_clause 0x1
	scratch_load_b128 v[130:133], off, off offset:864
	scratch_load_b128 v[213:216], off, off offset:824
	v_add_f64 v[2:3], v[4:5], v[2:3]
	v_add_f64 v[18:19], v[6:7], v[0:1]
	s_clause 0x1
	scratch_load_b32 v0, off, off offset:668
	scratch_load_b32 v1, off, off offset:960
	v_add_f64 v[16:17], v[8:9], v[2:3]
	s_waitcnt vmcnt(0)
	v_lshl_add_u32 v0, v0, 4, v1
	scratch_load_b128 v[1:4], off, off offset:4 ; 16-byte Folded Reload
	s_waitcnt vmcnt(0)
	ds_store_b128 v0, v[1:4]
	ds_store_b128 v0, v[178:181] offset:16
	ds_store_b128 v0, v[142:145] offset:32
	;; [unrolled: 1-line block ×6, first 2 shown]
	scratch_load_b128 v[1:4], off, off offset:196 ; 16-byte Folded Reload
	v_mov_b32_e32 v106, v237
	s_waitcnt vmcnt(0)
	ds_store_b128 v0, v[1:4] offset:112
	scratch_load_b128 v[1:4], off, off offset:52 ; 16-byte Folded Reload
	s_waitcnt vmcnt(0)
	ds_store_b128 v0, v[1:4] offset:128
	scratch_load_b128 v[1:4], off, off offset:20 ; 16-byte Folded Reload
	;; [unrolled: 3-line block ×3, first 2 shown]
	s_waitcnt vmcnt(0)
	ds_store_b128 v0, v[1:4] offset:160
	ds_store_b128 v0, v[182:185] offset:176
	;; [unrolled: 1-line block ×7, first 2 shown]
.LBB0_13:
	s_or_b32 exec_lo, exec_lo, s33
	s_waitcnt lgkmcnt(0)
	s_waitcnt_vscnt null, 0x0
	s_barrier
	buffer_gl0_inv
	ds_load_b128 v[0:3], v99 offset:1904
	scratch_load_b128 v[24:27], off, off offset:540 ; 16-byte Folded Reload
	s_mov_b32 s0, 0xe8584caa
	s_mov_b32 s1, 0xbfebb67a
	;; [unrolled: 1-line block ×18, first 2 shown]
	s_waitcnt lgkmcnt(0)
	v_mul_f64 v[4:5], v[202:203], v[2:3]
	s_mov_b32 s18, 0x37c3f68c
	s_mov_b32 s19, 0xbfdc38aa
	s_delay_alu instid0(VALU_DEP_1) | instskip(SKIP_1) | instid1(VALU_DEP_1)
	v_fma_f64 v[4:5], v[200:201], v[0:1], v[4:5]
	v_mul_f64 v[0:1], v[202:203], v[0:1]
	v_fma_f64 v[6:7], v[200:201], v[2:3], -v[0:1]
	ds_load_b128 v[0:3], v99 offset:2176
	s_waitcnt lgkmcnt(0)
	v_mul_f64 v[8:9], v[202:203], v[2:3]
	s_delay_alu instid0(VALU_DEP_1) | instskip(SKIP_1) | instid1(VALU_DEP_1)
	v_fma_f64 v[16:17], v[200:201], v[0:1], v[8:9]
	v_mul_f64 v[0:1], v[202:203], v[0:1]
	v_fma_f64 v[18:19], v[200:201], v[2:3], -v[0:1]
	ds_load_b128 v[0:3], v99 offset:3808
	s_waitcnt lgkmcnt(0)
	v_mul_f64 v[8:9], v[102:103], v[2:3]
	;; [unrolled: 7-line block ×3, first 2 shown]
	v_add_f64 v[14:15], v[6:7], v[10:11]
	s_delay_alu instid0(VALU_DEP_2) | instskip(SKIP_1) | instid1(VALU_DEP_1)
	v_fma_f64 v[20:21], v[100:101], v[0:1], v[12:13]
	v_mul_f64 v[0:1], v[102:103], v[0:1]
	v_fma_f64 v[22:23], v[100:101], v[2:3], -v[0:1]
	ds_load_b128 v[0:3], v99 offset:2448
	s_waitcnt lgkmcnt(0)
	v_mul_f64 v[12:13], v[219:220], v[2:3]
	s_delay_alu instid0(VALU_DEP_1) | instskip(SKIP_1) | instid1(VALU_DEP_1)
	v_fma_f64 v[28:29], v[217:218], v[0:1], v[12:13]
	v_mul_f64 v[0:1], v[219:220], v[0:1]
	v_fma_f64 v[30:31], v[217:218], v[2:3], -v[0:1]
	ds_load_b128 v[0:3], v99 offset:4352
	s_waitcnt lgkmcnt(0)
	v_mul_f64 v[12:13], v[215:216], v[2:3]
	s_delay_alu instid0(VALU_DEP_1) | instskip(SKIP_1) | instid1(VALU_DEP_2)
	v_fma_f64 v[32:33], v[213:214], v[0:1], v[12:13]
	v_mul_f64 v[0:1], v[215:216], v[0:1]
	v_add_f64 v[36:37], v[28:29], v[32:33]
	s_delay_alu instid0(VALU_DEP_2) | instskip(SKIP_4) | instid1(VALU_DEP_2)
	v_fma_f64 v[34:35], v[213:214], v[2:3], -v[0:1]
	ds_load_b128 v[0:3], v99 offset:2720
	s_waitcnt lgkmcnt(0)
	v_mul_f64 v[12:13], v[206:207], v[2:3]
	v_add_f64 v[38:39], v[30:31], v[34:35]
	v_fma_f64 v[52:53], v[204:205], v[0:1], v[12:13]
	v_mul_f64 v[0:1], v[206:207], v[0:1]
	s_delay_alu instid0(VALU_DEP_1) | instskip(SKIP_3) | instid1(VALU_DEP_1)
	v_fma_f64 v[54:55], v[204:205], v[2:3], -v[0:1]
	ds_load_b128 v[0:3], v99 offset:4624
	s_waitcnt lgkmcnt(0)
	v_mul_f64 v[12:13], v[231:232], v[2:3]
	v_fma_f64 v[56:57], v[229:230], v[0:1], v[12:13]
	v_mul_f64 v[0:1], v[231:232], v[0:1]
	s_delay_alu instid0(VALU_DEP_1) | instskip(SKIP_3) | instid1(VALU_DEP_1)
	v_fma_f64 v[58:59], v[229:230], v[2:3], -v[0:1]
	ds_load_b128 v[0:3], v99 offset:2992
	s_waitcnt lgkmcnt(0)
	v_mul_f64 v[12:13], v[235:236], v[2:3]
	;; [unrolled: 7-line block ×6, first 2 shown]
	v_fma_f64 v[76:77], v[120:121], v[0:1], v[12:13]
	v_mul_f64 v[0:1], v[122:123], v[0:1]
	s_delay_alu instid0(VALU_DEP_1) | instskip(SKIP_3) | instid1(VALU_DEP_1)
	v_fma_f64 v[78:79], v[120:121], v[2:3], -v[0:1]
	ds_load_b128 v[0:3], v99 offset:5440
	s_waitcnt vmcnt(0) lgkmcnt(0)
	v_mul_f64 v[12:13], v[26:27], v[2:3]
	v_fma_f64 v[80:81], v[24:25], v[0:1], v[12:13]
	v_mul_f64 v[0:1], v[26:27], v[0:1]
	v_add_f64 v[12:13], v[4:5], v[8:9]
	v_add_f64 v[26:27], v[18:19], v[22:23]
	s_delay_alu instid0(VALU_DEP_3)
	v_fma_f64 v[82:83], v[24:25], v[2:3], -v[0:1]
	ds_load_b128 v[0:3], v99
	v_add_f64 v[24:25], v[16:17], v[20:21]
	s_waitcnt lgkmcnt(0)
	v_fma_f64 v[14:15], v[14:15], -0.5, v[2:3]
	v_add_f64 v[2:3], v[2:3], v[6:7]
	v_fma_f64 v[12:13], v[12:13], -0.5, v[0:1]
	v_add_f64 v[0:1], v[0:1], v[4:5]
	v_add_f64 v[6:7], v[6:7], -v[10:11]
	s_delay_alu instid0(VALU_DEP_4) | instskip(SKIP_1) | instid1(VALU_DEP_4)
	v_add_f64 v[2:3], v[2:3], v[10:11]
	v_add_f64 v[10:11], v[4:5], -v[8:9]
	v_add_f64 v[0:1], v[0:1], v[8:9]
	s_delay_alu instid0(VALU_DEP_4) | instskip(SKIP_1) | instid1(VALU_DEP_4)
	v_fma_f64 v[4:5], v[6:7], s[0:1], v[12:13]
	v_fma_f64 v[8:9], v[6:7], s[2:3], v[12:13]
	v_fma_f64 v[6:7], v[10:11], s[2:3], v[14:15]
	v_fma_f64 v[10:11], v[10:11], s[0:1], v[14:15]
	ds_load_b128 v[12:15], v99 offset:272
	s_waitcnt lgkmcnt(0)
	v_fma_f64 v[26:27], v[26:27], -0.5, v[14:15]
	v_add_f64 v[14:15], v[14:15], v[18:19]
	v_fma_f64 v[24:25], v[24:25], -0.5, v[12:13]
	v_add_f64 v[12:13], v[12:13], v[16:17]
	v_add_f64 v[18:19], v[18:19], -v[22:23]
	s_delay_alu instid0(VALU_DEP_4) | instskip(SKIP_1) | instid1(VALU_DEP_4)
	v_add_f64 v[14:15], v[14:15], v[22:23]
	v_add_f64 v[22:23], v[16:17], -v[20:21]
	v_add_f64 v[12:13], v[12:13], v[20:21]
	s_delay_alu instid0(VALU_DEP_4) | instskip(SKIP_1) | instid1(VALU_DEP_4)
	v_fma_f64 v[16:17], v[18:19], s[0:1], v[24:25]
	v_fma_f64 v[20:21], v[18:19], s[2:3], v[24:25]
	v_fma_f64 v[18:19], v[22:23], s[2:3], v[26:27]
	v_fma_f64 v[22:23], v[22:23], s[0:1], v[26:27]
	ds_load_b128 v[24:27], v99 offset:544
	;; [unrolled: 16-line block ×3, first 2 shown]
	ds_load_b128 v[40:43], v99 offset:816
	ds_load_b128 v[44:47], v99 offset:1088
	;; [unrolled: 1-line block ×3, first 2 shown]
	s_waitcnt lgkmcnt(0)
	s_barrier
	buffer_gl0_inv
	ds_store_b128 v99, v[0:3]
	ds_store_b128 v99, v[12:15] offset:816
	ds_store_b128 v99, v[4:7] offset:272
	;; [unrolled: 1-line block ×5, first 2 shown]
	scratch_load_b32 v237, off, off offset:840 ; 4-byte Folded Reload
	v_add_f64 v[0:1], v[52:53], v[56:57]
	v_add_f64 v[8:9], v[54:55], -v[58:59]
	v_add_f64 v[12:13], v[52:53], -v[56:57]
	s_waitcnt vmcnt(0)
	ds_store_b128 v237, v[24:27] offset:1632
	ds_store_b128 v237, v[28:31] offset:1904
	;; [unrolled: 1-line block ×3, first 2 shown]
	scratch_load_b32 v237, off, off offset:816 ; 4-byte Folded Reload
	v_fma_f64 v[6:7], v[0:1], -0.5, v[40:41]
	v_add_f64 v[0:1], v[54:55], v[58:59]
	v_add_f64 v[4:5], v[40:41], v[52:53]
	s_delay_alu instid0(VALU_DEP_2) | instskip(SKIP_1) | instid1(VALU_DEP_1)
	v_fma_f64 v[10:11], v[0:1], -0.5, v[42:43]
	v_add_f64 v[0:1], v[42:43], v[54:55]
	v_add_f64 v[2:3], v[0:1], v[58:59]
	s_delay_alu instid0(VALU_DEP_4)
	v_add_f64 v[0:1], v[4:5], v[56:57]
	v_fma_f64 v[4:5], v[8:9], s[0:1], v[6:7]
	v_fma_f64 v[8:9], v[8:9], s[2:3], v[6:7]
	;; [unrolled: 1-line block ×4, first 2 shown]
	v_add_f64 v[12:13], v[60:61], -v[64:65]
	s_waitcnt vmcnt(0)
	ds_store_b128 v237, v[0:3] offset:2448
	ds_store_b128 v237, v[4:7] offset:2720
	;; [unrolled: 1-line block ×3, first 2 shown]
	scratch_load_b32 v237, off, off offset:808 ; 4-byte Folded Reload
	v_add_f64 v[0:1], v[60:61], v[64:65]
	v_add_f64 v[4:5], v[44:45], v[60:61]
	v_add_f64 v[8:9], v[62:63], -v[66:67]
	s_delay_alu instid0(VALU_DEP_3) | instskip(SKIP_1) | instid1(VALU_DEP_1)
	v_fma_f64 v[6:7], v[0:1], -0.5, v[44:45]
	v_add_f64 v[0:1], v[62:63], v[66:67]
	v_fma_f64 v[10:11], v[0:1], -0.5, v[46:47]
	v_add_f64 v[0:1], v[46:47], v[62:63]
	s_delay_alu instid0(VALU_DEP_1)
	v_add_f64 v[2:3], v[0:1], v[66:67]
	v_add_f64 v[0:1], v[4:5], v[64:65]
	v_fma_f64 v[4:5], v[8:9], s[0:1], v[6:7]
	v_fma_f64 v[8:9], v[8:9], s[2:3], v[6:7]
	;; [unrolled: 1-line block ×4, first 2 shown]
	v_add_f64 v[12:13], v[68:69], -v[72:73]
	s_waitcnt vmcnt(0)
	ds_store_b128 v237, v[0:3] offset:3264
	ds_store_b128 v237, v[4:7] offset:3536
	;; [unrolled: 1-line block ×3, first 2 shown]
	scratch_load_b32 v237, off, off offset:800 ; 4-byte Folded Reload
	v_add_f64 v[0:1], v[68:69], v[72:73]
	v_add_f64 v[4:5], v[48:49], v[68:69]
	v_add_f64 v[8:9], v[70:71], -v[74:75]
	s_delay_alu instid0(VALU_DEP_3) | instskip(SKIP_1) | instid1(VALU_DEP_1)
	v_fma_f64 v[6:7], v[0:1], -0.5, v[48:49]
	v_add_f64 v[0:1], v[70:71], v[74:75]
	v_fma_f64 v[10:11], v[0:1], -0.5, v[50:51]
	v_add_f64 v[0:1], v[50:51], v[70:71]
	s_delay_alu instid0(VALU_DEP_1)
	v_add_f64 v[2:3], v[0:1], v[74:75]
	v_add_f64 v[0:1], v[4:5], v[72:73]
	v_fma_f64 v[4:5], v[8:9], s[0:1], v[6:7]
	v_fma_f64 v[8:9], v[8:9], s[2:3], v[6:7]
	;; [unrolled: 1-line block ×4, first 2 shown]
	v_add_f64 v[12:13], v[76:77], -v[80:81]
	s_waitcnt vmcnt(0)
	ds_store_b128 v237, v[0:3] offset:4080
	ds_store_b128 v237, v[4:7] offset:4352
	;; [unrolled: 1-line block ×3, first 2 shown]
	v_add_f64 v[0:1], v[76:77], v[80:81]
	v_add_f64 v[4:5], v[36:37], v[76:77]
	v_add_f64 v[8:9], v[78:79], -v[82:83]
	s_delay_alu instid0(VALU_DEP_3) | instskip(SKIP_1) | instid1(VALU_DEP_1)
	v_fma_f64 v[6:7], v[0:1], -0.5, v[36:37]
	v_add_f64 v[0:1], v[78:79], v[82:83]
	v_fma_f64 v[10:11], v[0:1], -0.5, v[38:39]
	v_add_f64 v[0:1], v[38:39], v[78:79]
	s_delay_alu instid0(VALU_DEP_1)
	v_add_f64 v[2:3], v[0:1], v[82:83]
	v_add_f64 v[0:1], v[4:5], v[80:81]
	v_fma_f64 v[4:5], v[8:9], s[0:1], v[6:7]
	v_fma_f64 v[8:9], v[8:9], s[2:3], v[6:7]
	;; [unrolled: 1-line block ×4, first 2 shown]
	ds_store_b128 v239, v[0:3] offset:4896
	ds_store_b128 v239, v[4:7] offset:5168
	;; [unrolled: 1-line block ×3, first 2 shown]
	s_waitcnt lgkmcnt(0)
	s_barrier
	buffer_gl0_inv
	s_clause 0x3
	scratch_load_b128 v[10:13], off, off offset:784
	scratch_load_b128 v[14:17], off, off offset:636
	;; [unrolled: 1-line block ×4, first 2 shown]
	ds_load_b128 v[0:3], v99 offset:816
	s_mov_b32 s2, 0x429ad128
	s_mov_b32 s3, 0xbfebfeb5
	;; [unrolled: 1-line block ×4, first 2 shown]
	s_clause 0x1
	scratch_load_b128 v[44:47], off, off offset:752
	scratch_load_b128 v[76:79], off, off offset:524
	s_waitcnt lgkmcnt(0)
	v_mul_f64 v[4:5], v[132:133], v[2:3]
	s_delay_alu instid0(VALU_DEP_1) | instskip(SKIP_1) | instid1(VALU_DEP_1)
	v_fma_f64 v[4:5], v[130:131], v[0:1], v[4:5]
	v_mul_f64 v[0:1], v[132:133], v[0:1]
	v_fma_f64 v[6:7], v[130:131], v[2:3], -v[0:1]
	ds_load_b128 v[0:3], v99 offset:1632
	s_waitcnt vmcnt(5) lgkmcnt(0)
	v_mul_f64 v[8:9], v[12:13], v[2:3]
	s_delay_alu instid0(VALU_DEP_1) | instskip(SKIP_1) | instid1(VALU_DEP_1)
	v_fma_f64 v[8:9], v[10:11], v[0:1], v[8:9]
	v_mul_f64 v[0:1], v[12:13], v[0:1]
	v_fma_f64 v[10:11], v[10:11], v[2:3], -v[0:1]
	ds_load_b128 v[0:3], v99 offset:4080
	s_waitcnt vmcnt(4) lgkmcnt(0)
	;; [unrolled: 7-line block ×4, first 2 shown]
	v_mul_f64 v[20:21], v[24:25], v[2:3]
	s_delay_alu instid0(VALU_DEP_1) | instskip(SKIP_1) | instid1(VALU_DEP_1)
	v_fma_f64 v[52:53], v[22:23], v[0:1], v[20:21]
	v_mul_f64 v[0:1], v[24:25], v[0:1]
	v_fma_f64 v[54:55], v[22:23], v[2:3], -v[0:1]
	scratch_load_b128 v[22:25], off, off offset:652 ; 16-byte Folded Reload
	ds_load_b128 v[0:3], v99 offset:1904
	s_waitcnt vmcnt(0) lgkmcnt(0)
	v_mul_f64 v[20:21], v[24:25], v[2:3]
	s_delay_alu instid0(VALU_DEP_1) | instskip(SKIP_1) | instid1(VALU_DEP_1)
	v_fma_f64 v[56:57], v[22:23], v[0:1], v[20:21]
	v_mul_f64 v[0:1], v[24:25], v[0:1]
	v_fma_f64 v[58:59], v[22:23], v[2:3], -v[0:1]
	scratch_load_b128 v[22:25], off, off offset:768 ; 16-byte Folded Reload
	ds_load_b128 v[0:3], v99 offset:5168
	s_waitcnt vmcnt(0) lgkmcnt(0)
	v_mul_f64 v[20:21], v[24:25], v[2:3]
	s_delay_alu instid0(VALU_DEP_1) | instskip(SKIP_1) | instid1(VALU_DEP_1)
	v_fma_f64 v[60:61], v[22:23], v[0:1], v[20:21]
	v_mul_f64 v[0:1], v[24:25], v[0:1]
	v_fma_f64 v[62:63], v[22:23], v[2:3], -v[0:1]
	scratch_load_b128 v[22:25], off, off offset:604 ; 16-byte Folded Reload
	ds_load_b128 v[0:3], v99 offset:4352
	v_add_f64 v[84:85], v[54:55], v[62:63]
	v_add_f64 v[62:63], v[54:55], -v[62:63]
	s_waitcnt vmcnt(0) lgkmcnt(0)
	v_mul_f64 v[20:21], v[24:25], v[2:3]
	s_delay_alu instid0(VALU_DEP_1) | instskip(SKIP_1) | instid1(VALU_DEP_1)
	v_fma_f64 v[64:65], v[22:23], v[0:1], v[20:21]
	v_mul_f64 v[0:1], v[24:25], v[0:1]
	v_fma_f64 v[66:67], v[22:23], v[2:3], -v[0:1]
	scratch_load_b128 v[22:25], off, off offset:672 ; 16-byte Folded Reload
	ds_load_b128 v[0:3], v99 offset:1360
	v_add_f64 v[86:87], v[58:59], v[66:67]
	v_add_f64 v[58:59], v[58:59], -v[66:67]
	s_delay_alu instid0(VALU_DEP_1) | instskip(SKIP_2) | instid1(VALU_DEP_1)
	v_add_f64 v[92:93], v[58:59], -v[62:63]
	s_waitcnt vmcnt(0) lgkmcnt(0)
	v_mul_f64 v[20:21], v[24:25], v[2:3]
	v_fma_f64 v[30:31], v[22:23], v[0:1], v[20:21]
	v_mul_f64 v[0:1], v[24:25], v[0:1]
	s_delay_alu instid0(VALU_DEP_1) | instskip(SKIP_4) | instid1(VALU_DEP_1)
	v_fma_f64 v[28:29], v[22:23], v[2:3], -v[0:1]
	scratch_load_b128 v[22:25], off, off offset:688 ; 16-byte Folded Reload
	ds_load_b128 v[0:3], v99 offset:2176
	s_waitcnt vmcnt(0) lgkmcnt(0)
	v_mul_f64 v[20:21], v[24:25], v[2:3]
	v_fma_f64 v[34:35], v[22:23], v[0:1], v[20:21]
	v_mul_f64 v[0:1], v[24:25], v[0:1]
	s_delay_alu instid0(VALU_DEP_1) | instskip(SKIP_4) | instid1(VALU_DEP_1)
	v_fma_f64 v[32:33], v[22:23], v[2:3], -v[0:1]
	scratch_load_b128 v[22:25], off, off offset:704 ; 16-byte Folded Reload
	ds_load_b128 v[0:3], v99 offset:5440
	;; [unrolled: 8-line block ×3, first 2 shown]
	s_waitcnt vmcnt(0) lgkmcnt(0)
	v_mul_f64 v[20:21], v[24:25], v[2:3]
	v_fma_f64 v[42:43], v[22:23], v[0:1], v[20:21]
	v_mul_f64 v[0:1], v[24:25], v[0:1]
	scratch_load_b128 v[24:27], off, off offset:736 ; 16-byte Folded Reload
	v_fma_f64 v[40:41], v[22:23], v[2:3], -v[0:1]
	ds_load_b128 v[0:3], v99 offset:2448
	s_waitcnt vmcnt(0) lgkmcnt(0)
	v_mul_f64 v[20:21], v[26:27], v[2:3]
	s_delay_alu instid0(VALU_DEP_1) | instskip(SKIP_1) | instid1(VALU_DEP_1)
	v_fma_f64 v[22:23], v[24:25], v[0:1], v[20:21]
	v_mul_f64 v[0:1], v[26:27], v[0:1]
	v_fma_f64 v[20:21], v[24:25], v[2:3], -v[0:1]
	ds_load_b128 v[0:3], v99 offset:3264
	s_waitcnt lgkmcnt(0)
	v_mul_f64 v[24:25], v[46:47], v[2:3]
	s_delay_alu instid0(VALU_DEP_1)
	v_fma_f64 v[26:27], v[44:45], v[0:1], v[24:25]
	v_mul_f64 v[0:1], v[46:47], v[0:1]
	scratch_load_b128 v[46:49], off, off offset:556 ; 16-byte Folded Reload
	v_fma_f64 v[24:25], v[44:45], v[2:3], -v[0:1]
	ds_load_b128 v[0:3], v99 offset:2720
	s_waitcnt vmcnt(0) lgkmcnt(0)
	v_mul_f64 v[44:45], v[48:49], v[2:3]
	s_delay_alu instid0(VALU_DEP_1) | instskip(SKIP_1) | instid1(VALU_DEP_1)
	v_fma_f64 v[68:69], v[46:47], v[0:1], v[44:45]
	v_mul_f64 v[0:1], v[48:49], v[0:1]
	v_fma_f64 v[70:71], v[46:47], v[2:3], -v[0:1]
	scratch_load_b128 v[46:49], off, off offset:572 ; 16-byte Folded Reload
	ds_load_b128 v[0:3], v99 offset:3536
	s_waitcnt vmcnt(0) lgkmcnt(0)
	v_mul_f64 v[44:45], v[48:49], v[2:3]
	s_delay_alu instid0(VALU_DEP_1)
	v_fma_f64 v[72:73], v[46:47], v[0:1], v[44:45]
	v_mul_f64 v[0:1], v[48:49], v[0:1]
	scratch_load_b128 v[48:51], off, off offset:508 ; 16-byte Folded Reload
	v_add_f64 v[80:81], v[68:69], v[72:73]
	v_fma_f64 v[74:75], v[46:47], v[2:3], -v[0:1]
	ds_load_b128 v[0:3], v99 offset:2992
	v_add_f64 v[88:89], v[70:71], v[74:75]
	v_add_f64 v[66:67], v[74:75], -v[70:71]
	s_delay_alu instid0(VALU_DEP_2) | instskip(SKIP_2) | instid1(VALU_DEP_1)
	v_add_f64 v[74:75], v[88:89], -v[86:87]
	s_waitcnt vmcnt(0) lgkmcnt(0)
	v_mul_f64 v[44:45], v[50:51], v[2:3]
	v_fma_f64 v[46:47], v[48:49], v[0:1], v[44:45]
	v_mul_f64 v[0:1], v[50:51], v[0:1]
	s_delay_alu instid0(VALU_DEP_1) | instskip(SKIP_3) | instid1(VALU_DEP_1)
	v_fma_f64 v[44:45], v[48:49], v[2:3], -v[0:1]
	ds_load_b128 v[0:3], v99 offset:3808
	s_waitcnt lgkmcnt(0)
	v_mul_f64 v[48:49], v[78:79], v[2:3]
	v_fma_f64 v[50:51], v[76:77], v[0:1], v[48:49]
	v_mul_f64 v[0:1], v[78:79], v[0:1]
	v_add_f64 v[78:79], v[56:57], v[64:65]
	v_add_f64 v[56:57], v[56:57], -v[64:65]
	v_add_f64 v[64:65], v[72:73], -v[68:69]
	;; [unrolled: 1-line block ×3, first 2 shown]
	v_fma_f64 v[48:49], v[76:77], v[2:3], -v[0:1]
	v_add_f64 v[76:77], v[52:53], v[60:61]
	v_add_f64 v[60:61], v[52:53], -v[60:61]
	v_add_f64 v[54:55], v[64:65], -v[56:57]
	;; [unrolled: 1-line block ×3, first 2 shown]
	v_add_f64 v[52:53], v[64:65], v[56:57]
	v_add_f64 v[0:1], v[78:79], v[76:77]
	v_add_f64 v[68:69], v[78:79], -v[76:77]
	v_add_f64 v[78:79], v[56:57], -v[60:61]
	;; [unrolled: 1-line block ×3, first 2 shown]
	v_mul_f64 v[94:95], v[54:55], s[16:17]
	v_add_f64 v[76:77], v[76:77], -v[80:81]
	v_add_f64 v[100:101], v[52:53], v[60:61]
	v_mul_f64 v[52:53], v[70:71], s[0:1]
	v_mul_f64 v[54:55], v[74:75], s[0:1]
	v_add_f64 v[82:83], v[80:81], v[0:1]
	v_add_f64 v[0:1], v[86:87], v[84:85]
	;; [unrolled: 1-line block ×3, first 2 shown]
	v_add_f64 v[80:81], v[84:85], -v[88:89]
	v_mul_f64 v[96:97], v[56:57], s[16:17]
	v_fma_f64 v[56:57], v[78:79], s[2:3], -v[94:95]
	v_add_f64 v[84:85], v[60:61], -v[64:65]
	v_mul_f64 v[60:61], v[78:79], s[2:3]
	v_mul_f64 v[76:77], v[76:77], s[22:23]
	v_fma_f64 v[52:53], v[68:69], s[14:15], -v[52:53]
	v_fma_f64 v[54:55], v[72:73], s[14:15], -v[54:55]
	v_add_f64 v[90:91], v[88:89], v[0:1]
	ds_load_b128 v[0:3], v99 offset:272
	v_add_f64 v[86:87], v[86:87], v[62:63]
	v_add_f64 v[88:89], v[62:63], -v[66:67]
	v_mul_f64 v[62:63], v[92:93], s[2:3]
	v_mul_f64 v[78:79], v[80:81], s[22:23]
	v_fma_f64 v[60:61], v[84:85], s[26:27], -v[60:61]
	v_fma_f64 v[64:65], v[68:69], s[24:25], -v[76:77]
	v_fma_f64 v[70:71], v[70:71], s[0:1], v[76:77]
	v_fma_f64 v[58:59], v[100:101], s[18:19], v[56:57]
	v_fma_f64 v[56:57], v[92:93], s[2:3], -v[96:97]
	s_waitcnt lgkmcnt(0)
	v_add_f64 v[0:1], v[0:1], v[82:83]
	v_add_f64 v[2:3], v[2:3], v[90:91]
	v_fma_f64 v[62:63], v[88:89], s[26:27], -v[62:63]
	v_fma_f64 v[66:67], v[72:73], s[24:25], -v[78:79]
	v_fma_f64 v[68:69], v[100:101], s[18:19], v[60:61]
	v_fma_f64 v[74:75], v[74:75], s[0:1], v[78:79]
	;; [unrolled: 1-line block ×6, first 2 shown]
	s_delay_alu instid0(VALU_DEP_3)
	v_add_f64 v[64:65], v[64:65], v[82:83]
	v_add_f64 v[78:79], v[70:71], v[82:83]
	;; [unrolled: 1-line block ×7, first 2 shown]
	v_add_f64 v[64:65], v[64:65], -v[72:73]
	v_fma_f64 v[72:73], v[88:89], s[20:21], v[96:97]
	v_add_f64 v[52:53], v[102:103], -v[56:57]
	v_add_f64 v[56:57], v[56:57], v[102:103]
	v_add_f64 v[62:63], v[66:67], -v[68:69]
	v_add_f64 v[66:67], v[68:69], v[66:67]
	v_fma_f64 v[68:69], v[84:85], s[20:21], v[94:95]
	v_add_f64 v[54:55], v[58:59], v[104:105]
	v_add_f64 v[58:59], v[104:105], -v[58:59]
	v_fma_f64 v[76:77], v[86:87], s[18:19], v[72:73]
	s_delay_alu instid0(VALU_DEP_4) | instskip(NEXT) | instid1(VALU_DEP_2)
	v_fma_f64 v[68:69], v[100:101], s[18:19], v[68:69]
	v_add_f64 v[71:72], v[76:77], v[78:79]
	v_add_f64 v[76:77], v[78:79], -v[76:77]
	s_delay_alu instid0(VALU_DEP_3)
	v_add_f64 v[73:74], v[80:81], -v[68:69]
	v_add_f64 v[78:79], v[68:69], v[80:81]
	ds_store_b128 v106, v[71:74] offset:816
	ds_store_b128 v106, v[60:63] offset:1632
	;; [unrolled: 1-line block ×6, first 2 shown]
	v_add_f64 v[56:57], v[30:31], v[38:39]
	v_add_f64 v[58:59], v[34:35], v[42:43]
	;; [unrolled: 1-line block ×5, first 2 shown]
	v_add_f64 v[34:35], v[34:35], -v[42:43]
	v_add_f64 v[42:43], v[50:51], -v[46:47]
	v_add_f64 v[68:69], v[44:45], v[48:49]
	v_add_f64 v[38:39], v[30:31], -v[38:39]
	v_add_f64 v[30:31], v[32:33], -v[40:41]
	;; [unrolled: 1-line block ×4, first 2 shown]
	v_add_f64 v[52:53], v[58:59], v[56:57]
	v_add_f64 v[44:45], v[58:59], -v[56:57]
	v_add_f64 v[46:47], v[60:61], -v[58:59]
	;; [unrolled: 1-line block ×7, first 2 shown]
	v_add_f64 v[32:33], v[42:43], v[34:35]
	v_add_f64 v[34:35], v[40:41], -v[30:31]
	v_add_f64 v[72:73], v[30:31], -v[36:37]
	v_add_f64 v[62:63], v[60:61], v[52:53]
	v_add_f64 v[52:53], v[66:67], v[64:65]
	;; [unrolled: 1-line block ×3, first 2 shown]
	v_add_f64 v[60:61], v[64:65], -v[68:69]
	v_add_f64 v[64:65], v[38:39], -v[42:43]
	v_mul_f64 v[74:75], v[28:29], s[16:17]
	v_mul_f64 v[56:57], v[56:57], s[22:23]
	;; [unrolled: 1-line block ×3, first 2 shown]
	v_add_f64 v[78:79], v[32:33], v[38:39]
	v_mul_f64 v[30:31], v[50:51], s[0:1]
	v_mul_f64 v[38:39], v[72:73], s[2:3]
	v_mul_f64 v[76:77], v[34:35], s[16:17]
	v_add_f64 v[70:71], v[68:69], v[52:53]
	ds_load_b128 v[52:55], v99 offset:544
	v_add_f64 v[66:67], v[66:67], v[36:37]
	v_add_f64 v[68:69], v[36:37], -v[40:41]
	v_fma_f64 v[32:33], v[58:59], s[2:3], -v[74:75]
	v_mul_f64 v[36:37], v[58:59], s[2:3]
	v_mul_f64 v[58:59], v[60:61], s[22:23]
	v_fma_f64 v[40:41], v[44:45], s[24:25], -v[56:57]
	v_fma_f64 v[28:29], v[44:45], s[14:15], -v[28:29]
	;; [unrolled: 1-line block ×3, first 2 shown]
	v_fma_f64 v[46:47], v[46:47], s[0:1], v[56:57]
	s_waitcnt lgkmcnt(0)
	v_add_f64 v[52:53], v[52:53], v[62:63]
	v_add_f64 v[54:55], v[54:55], v[70:71]
	v_fma_f64 v[38:39], v[68:69], s[26:27], -v[38:39]
	v_fma_f64 v[34:35], v[78:79], s[18:19], v[32:33]
	v_fma_f64 v[36:37], v[64:65], s[26:27], -v[36:37]
	v_fma_f64 v[42:43], v[48:49], s[24:25], -v[58:59]
	v_fma_f64 v[50:51], v[50:51], s[0:1], v[58:59]
	v_fma_f64 v[32:33], v[72:73], s[2:3], -v[76:77]
	v_fma_f64 v[62:63], v[62:63], s[8:9], v[52:53]
	v_fma_f64 v[70:71], v[70:71], s[8:9], v[54:55]
	;; [unrolled: 1-line block ×5, first 2 shown]
	v_add_f64 v[40:41], v[40:41], v[62:63]
	v_add_f64 v[58:59], v[46:47], v[62:63]
	;; [unrolled: 1-line block ×7, first 2 shown]
	v_add_f64 v[40:41], v[40:41], -v[48:49]
	v_fma_f64 v[48:49], v[68:69], s[20:21], v[76:77]
	v_add_f64 v[28:29], v[80:81], -v[32:33]
	v_add_f64 v[32:33], v[32:33], v[80:81]
	v_add_f64 v[38:39], v[42:43], -v[44:45]
	v_add_f64 v[42:43], v[44:45], v[42:43]
	v_fma_f64 v[44:45], v[64:65], s[20:21], v[74:75]
	v_add_f64 v[30:31], v[34:35], v[82:83]
	v_add_f64 v[34:35], v[82:83], -v[34:35]
	v_fma_f64 v[48:49], v[66:67], s[18:19], v[48:49]
	s_delay_alu instid0(VALU_DEP_4) | instskip(NEXT) | instid1(VALU_DEP_2)
	v_fma_f64 v[56:57], v[78:79], s[18:19], v[44:45]
	v_add_f64 v[44:45], v[48:49], v[58:59]
	v_add_f64 v[48:49], v[58:59], -v[48:49]
	s_delay_alu instid0(VALU_DEP_3)
	v_add_f64 v[46:47], v[50:51], -v[56:57]
	v_add_f64 v[50:51], v[56:57], v[50:51]
	ds_store_b128 v98, v[44:47] offset:816
	ds_store_b128 v98, v[36:39] offset:1632
	;; [unrolled: 1-line block ×6, first 2 shown]
	v_add_f64 v[32:33], v[4:5], v[16:17]
	v_add_f64 v[34:35], v[8:9], v[12:13]
	;; [unrolled: 1-line block ×5, first 2 shown]
	v_add_f64 v[8:9], v[8:9], -v[12:13]
	v_add_f64 v[12:13], v[26:27], -v[22:23]
	v_add_f64 v[44:45], v[20:21], v[24:25]
	v_add_f64 v[10:11], v[10:11], -v[14:15]
	v_add_f64 v[14:15], v[4:5], -v[16:17]
	;; [unrolled: 1-line block ×4, first 2 shown]
	v_add_f64 v[28:29], v[34:35], v[32:33]
	v_add_f64 v[20:21], v[34:35], -v[32:33]
	v_add_f64 v[22:23], v[36:37], -v[34:35]
	;; [unrolled: 1-line block ×5, first 2 shown]
	v_add_f64 v[4:5], v[12:13], v[8:9]
	v_add_f64 v[26:27], v[44:45], -v[42:43]
	v_add_f64 v[34:35], v[8:9], -v[14:15]
	;; [unrolled: 1-line block ×4, first 2 shown]
	v_add_f64 v[38:39], v[36:37], v[28:29]
	v_add_f64 v[28:29], v[42:43], v[40:41]
	v_add_f64 v[36:37], v[40:41], -v[44:45]
	v_add_f64 v[42:43], v[16:17], v[10:11]
	v_add_f64 v[40:41], v[14:15], -v[12:13]
	v_mul_f64 v[50:51], v[6:7], s[16:17]
	v_add_f64 v[58:59], v[4:5], v[14:15]
	v_mul_f64 v[32:33], v[32:33], s[22:23]
	v_mul_f64 v[12:13], v[34:35], s[2:3]
	;; [unrolled: 1-line block ×6, first 2 shown]
	v_add_f64 v[46:47], v[44:45], v[28:29]
	ds_load_b128 v[28:31], v99
	v_add_f64 v[44:45], v[18:19], -v[16:17]
	v_add_f64 v[42:43], v[42:43], v[18:19]
	v_fma_f64 v[8:9], v[34:35], s[2:3], -v[50:51]
	v_mul_f64 v[34:35], v[36:37], s[22:23]
	v_fma_f64 v[16:17], v[20:21], s[24:25], -v[32:33]
	v_fma_f64 v[12:13], v[40:41], s[26:27], -v[12:13]
	v_fma_f64 v[22:23], v[22:23], s[0:1], v[32:33]
	v_fma_f64 v[4:5], v[20:21], s[14:15], -v[4:5]
	v_fma_f64 v[6:7], v[24:25], s[14:15], -v[6:7]
	s_waitcnt lgkmcnt(0)
	v_add_f64 v[28:29], v[28:29], v[38:39]
	v_add_f64 v[30:31], v[30:31], v[46:47]
	v_fma_f64 v[14:15], v[44:45], s[26:27], -v[14:15]
	v_fma_f64 v[10:11], v[58:59], s[18:19], v[8:9]
	v_fma_f64 v[18:19], v[24:25], s[24:25], -v[34:35]
	v_fma_f64 v[8:9], v[48:49], s[2:3], -v[56:57]
	v_fma_f64 v[20:21], v[58:59], s[18:19], v[12:13]
	v_fma_f64 v[26:27], v[26:27], s[0:1], v[34:35]
	s_mov_b32 s2, 0x16f26017
	s_mov_b32 s3, 0x3f66f260
	s_mul_i32 s1, s5, 21
	v_fma_f64 v[38:39], v[38:39], s[8:9], v[28:29]
	v_fma_f64 v[46:47], v[46:47], s[8:9], v[30:31]
	;; [unrolled: 1-line block ×4, first 2 shown]
	s_delay_alu instid0(VALU_DEP_4)
	v_add_f64 v[16:17], v[16:17], v[38:39]
	v_add_f64 v[60:61], v[4:5], v[38:39]
	;; [unrolled: 1-line block ×7, first 2 shown]
	v_add_f64 v[16:17], v[16:17], -v[24:25]
	v_fma_f64 v[24:25], v[40:41], s[20:21], v[50:51]
	v_add_f64 v[4:5], v[60:61], -v[8:9]
	v_add_f64 v[8:9], v[8:9], v[60:61]
	v_add_f64 v[14:15], v[18:19], -v[20:21]
	v_add_f64 v[18:19], v[20:21], v[18:19]
	v_fma_f64 v[20:21], v[44:45], s[20:21], v[56:57]
	v_add_f64 v[6:7], v[10:11], v[62:63]
	v_add_f64 v[10:11], v[62:63], -v[10:11]
	v_fma_f64 v[34:35], v[58:59], s[18:19], v[24:25]
	s_delay_alu instid0(VALU_DEP_4) | instskip(NEXT) | instid1(VALU_DEP_2)
	v_fma_f64 v[32:33], v[42:43], s[18:19], v[20:21]
	v_add_f64 v[26:27], v[34:35], v[36:37]
	s_delay_alu instid0(VALU_DEP_2)
	v_add_f64 v[24:25], v[22:23], -v[32:33]
	v_add_f64 v[20:21], v[32:33], v[22:23]
	v_add_f64 v[22:23], v[36:37], -v[34:35]
	ds_store_b128 v99, v[28:31]
	ds_store_b128 v99, v[0:3] offset:272
	ds_store_b128 v99, v[12:15] offset:1632
	;; [unrolled: 1-line block ×8, first 2 shown]
	s_waitcnt lgkmcnt(0)
	s_barrier
	buffer_gl0_inv
	s_clause 0x5
	scratch_load_b128 v[6:9], off, off offset:332
	scratch_load_b128 v[54:57], off, off offset:348
	scratch_load_b128 v[10:13], off, off offset:380
	scratch_load_b128 v[14:17], off, off offset:364
	scratch_load_b128 v[18:21], off, off offset:412
	scratch_load_b128 v[58:61], off, off offset:396
	ds_load_b128 v[0:3], v99
	s_clause 0x9
	scratch_load_b128 v[22:25], off, off offset:444
	scratch_load_b128 v[62:65], off, off offset:428
	;; [unrolled: 1-line block ×10, first 2 shown]
	s_waitcnt vmcnt(15) lgkmcnt(0)
	v_mul_f64 v[4:5], v[8:9], v[2:3]
	s_delay_alu instid0(VALU_DEP_1) | instskip(SKIP_1) | instid1(VALU_DEP_1)
	v_fma_f64 v[4:5], v[6:7], v[0:1], v[4:5]
	v_mul_f64 v[0:1], v[8:9], v[0:1]
	v_fma_f64 v[6:7], v[6:7], v[2:3], -v[0:1]
	ds_load_b128 v[0:3], v99 offset:336
	s_waitcnt vmcnt(13) lgkmcnt(0)
	v_mul_f64 v[8:9], v[12:13], v[2:3]
	v_mul_f64 v[6:7], v[6:7], s[2:3]
	s_delay_alu instid0(VALU_DEP_2) | instskip(SKIP_1) | instid1(VALU_DEP_1)
	v_fma_f64 v[8:9], v[10:11], v[0:1], v[8:9]
	v_mul_f64 v[0:1], v[12:13], v[0:1]
	v_fma_f64 v[10:11], v[10:11], v[2:3], -v[0:1]
	ds_load_b128 v[0:3], v99 offset:672
	s_waitcnt vmcnt(12) lgkmcnt(0)
	v_mul_f64 v[12:13], v[16:17], v[2:3]
	s_delay_alu instid0(VALU_DEP_1) | instskip(SKIP_1) | instid1(VALU_DEP_1)
	v_fma_f64 v[12:13], v[14:15], v[0:1], v[12:13]
	v_mul_f64 v[0:1], v[16:17], v[0:1]
	v_fma_f64 v[14:15], v[14:15], v[2:3], -v[0:1]
	ds_load_b128 v[0:3], v99 offset:1008
	s_waitcnt vmcnt(11) lgkmcnt(0)
	v_mul_f64 v[16:17], v[20:21], v[2:3]
	s_delay_alu instid0(VALU_DEP_1) | instskip(SKIP_1) | instid1(VALU_DEP_1)
	;; [unrolled: 7-line block ×10, first 2 shown]
	v_fma_f64 v[48:49], v[50:51], v[0:1], v[48:49]
	v_mul_f64 v[0:1], v[52:53], v[0:1]
	v_fma_f64 v[50:51], v[50:51], v[2:3], -v[0:1]
	ds_load_b128 v[0:3], v99 offset:4032
	s_waitcnt lgkmcnt(0)
	v_mul_f64 v[52:53], v[56:57], v[2:3]
	s_delay_alu instid0(VALU_DEP_1) | instskip(SKIP_1) | instid1(VALU_DEP_1)
	v_fma_f64 v[52:53], v[54:55], v[0:1], v[52:53]
	v_mul_f64 v[0:1], v[56:57], v[0:1]
	v_fma_f64 v[54:55], v[54:55], v[2:3], -v[0:1]
	ds_load_b128 v[0:3], v99 offset:4368
	s_waitcnt lgkmcnt(0)
	v_mul_f64 v[56:57], v[60:61], v[2:3]
	s_delay_alu instid0(VALU_DEP_1) | instskip(SKIP_1) | instid1(VALU_DEP_1)
	v_fma_f64 v[56:57], v[58:59], v[0:1], v[56:57]
	v_mul_f64 v[0:1], v[60:61], v[0:1]
	v_fma_f64 v[58:59], v[58:59], v[2:3], -v[0:1]
	ds_load_b128 v[0:3], v99 offset:4704
	s_waitcnt lgkmcnt(0)
	v_mul_f64 v[60:61], v[64:65], v[2:3]
	s_delay_alu instid0(VALU_DEP_1) | instskip(SKIP_1) | instid1(VALU_DEP_1)
	v_fma_f64 v[60:61], v[62:63], v[0:1], v[60:61]
	v_mul_f64 v[0:1], v[64:65], v[0:1]
	v_fma_f64 v[62:63], v[62:63], v[2:3], -v[0:1]
	ds_load_b128 v[0:3], v99 offset:5040
	s_waitcnt lgkmcnt(0)
	v_mul_f64 v[64:65], v[68:69], v[2:3]
	s_delay_alu instid0(VALU_DEP_1) | instskip(SKIP_1) | instid1(VALU_DEP_1)
	v_fma_f64 v[64:65], v[66:67], v[0:1], v[64:65]
	v_mul_f64 v[0:1], v[68:69], v[0:1]
	v_fma_f64 v[0:1], v[66:67], v[2:3], -v[0:1]
	scratch_load_b64 v[2:3], off, off offset:228 ; 8-byte Folded Reload
	s_waitcnt vmcnt(0)
	v_mov_b32_e32 v68, v2
	s_delay_alu instid0(VALU_DEP_1) | instskip(SKIP_1) | instid1(SALU_CYCLE_1)
	v_mad_u64_u32 v[2:3], null, s6, v68, 0
	s_mul_hi_u32 s6, s4, 21
	s_add_i32 s1, s6, s1
	s_delay_alu instid0(VALU_DEP_1) | instskip(SKIP_1) | instid1(VALU_DEP_2)
	v_mad_u64_u32 v[66:67], null, s7, v68, v[3:4]
	v_mul_f64 v[4:5], v[4:5], s[2:3]
	v_mov_b32_e32 v3, v66
	v_mad_u64_u32 v[66:67], null, s4, v212, 0
	s_delay_alu instid0(VALU_DEP_2) | instskip(NEXT) | instid1(VALU_DEP_2)
	v_lshlrev_b64 v[2:3], 4, v[2:3]
	v_mad_u64_u32 v[68:69], null, s5, v212, v[67:68]
	s_delay_alu instid0(VALU_DEP_2) | instskip(NEXT) | instid1(VALU_DEP_1)
	v_add_co_u32 v2, s0, s10, v2
	v_add_co_ci_u32_e64 v3, s0, s11, v3, s0
	s_delay_alu instid0(VALU_DEP_3) | instskip(NEXT) | instid1(VALU_DEP_1)
	v_mov_b32_e32 v67, v68
	v_lshlrev_b64 v[66:67], 4, v[66:67]
	s_delay_alu instid0(VALU_DEP_1) | instskip(NEXT) | instid1(VALU_DEP_1)
	v_add_co_u32 v66, s0, v2, v66
	v_add_co_ci_u32_e64 v67, s0, v3, v67, s0
	s_mul_i32 s0, s4, 21
	s_delay_alu instid0(SALU_CYCLE_1) | instskip(SKIP_4) | instid1(VALU_DEP_1)
	s_lshl_b64 s[6:7], s[0:1], 4
	global_store_b128 v[66:67], v[4:7], off
	v_mul_f64 v[4:5], v[8:9], s[2:3]
	v_mul_f64 v[6:7], v[10:11], s[2:3]
	v_add_co_u32 v8, s0, v66, s6
	v_add_co_ci_u32_e64 v9, s0, s7, v67, s0
	v_mul_f64 v[10:11], v[22:23], s[2:3]
	v_mul_f64 v[22:23], v[46:47], s[2:3]
	global_store_b128 v[8:9], v[4:7], off
	v_mul_f64 v[4:5], v[12:13], s[2:3]
	v_mul_f64 v[6:7], v[14:15], s[2:3]
	v_add_co_u32 v12, s0, v8, s6
	s_delay_alu instid0(VALU_DEP_1)
	v_add_co_ci_u32_e64 v13, s0, s7, v9, s0
	v_mul_f64 v[8:9], v[20:21], s[2:3]
	v_mul_f64 v[14:15], v[26:27], s[2:3]
	;; [unrolled: 1-line block ×3, first 2 shown]
	global_store_b128 v[12:13], v[4:7], off
	v_mul_f64 v[6:7], v[18:19], s[2:3]
	scratch_load_b128 v[18:21], off, off offset:476 ; 16-byte Folded Reload
	v_mul_f64 v[4:5], v[16:17], s[2:3]
	v_add_co_u32 v16, s0, v12, s6
	s_delay_alu instid0(VALU_DEP_1)
	v_add_co_ci_u32_e64 v17, s0, s7, v13, s0
	v_mul_f64 v[12:13], v[24:25], s[2:3]
	v_mul_f64 v[24:25], v[48:49], s[2:3]
	global_store_b128 v[16:17], v[4:7], off
	ds_load_b128 v[4:7], v99 offset:5376
	v_add_co_u32 v16, s0, v16, s6
	s_delay_alu instid0(VALU_DEP_1) | instskip(SKIP_2) | instid1(VALU_DEP_1)
	v_add_co_ci_u32_e64 v17, s0, s7, v17, s0
	global_store_b128 v[16:17], v[8:11], off
	v_add_co_u32 v10, s0, v16, s6
	v_add_co_ci_u32_e64 v11, s0, s7, v17, s0
	s_delay_alu instid0(VALU_DEP_2) | instskip(SKIP_4) | instid1(VALU_DEP_1)
	v_add_co_u32 v70, s0, v10, s6
	global_store_b128 v[10:11], v[12:15], off
	v_add_co_ci_u32_e64 v71, s0, s7, v11, s0
	v_mul_f64 v[10:11], v[34:35], s[2:3]
	v_add_co_u32 v72, s0, v70, s6
	v_add_co_ci_u32_e64 v73, s0, s7, v71, s0
	v_mul_f64 v[12:13], v[36:37], s[2:3]
	v_mul_f64 v[14:15], v[38:39], s[2:3]
	s_delay_alu instid0(VALU_DEP_4) | instskip(NEXT) | instid1(VALU_DEP_1)
	v_add_co_u32 v74, s0, v72, s6
	v_add_co_ci_u32_e64 v75, s0, s7, v73, s0
	v_mul_f64 v[34:35], v[58:59], s[2:3]
	s_delay_alu instid0(VALU_DEP_3) | instskip(NEXT) | instid1(VALU_DEP_1)
	v_add_co_u32 v76, s0, v74, s6
	v_add_co_ci_u32_e64 v77, s0, s7, v75, s0
	v_mul_f64 v[36:37], v[60:61], s[2:3]
	v_mul_f64 v[38:39], v[62:63], s[2:3]
	s_waitcnt vmcnt(0) lgkmcnt(0)
	v_mul_f64 v[8:9], v[20:21], v[6:7]
	v_mul_f64 v[16:17], v[20:21], v[4:5]
	;; [unrolled: 1-line block ×3, first 2 shown]
	s_delay_alu instid0(VALU_DEP_3) | instskip(NEXT) | instid1(VALU_DEP_3)
	v_fma_f64 v[66:67], v[18:19], v[4:5], v[8:9]
	v_fma_f64 v[68:69], v[18:19], v[6:7], -v[16:17]
	v_mul_f64 v[4:5], v[28:29], s[2:3]
	v_mul_f64 v[6:7], v[30:31], s[2:3]
	v_mul_f64 v[8:9], v[32:33], s[2:3]
	v_mul_f64 v[16:17], v[40:41], s[2:3]
	v_mul_f64 v[18:19], v[42:43], s[2:3]
	v_mul_f64 v[28:29], v[52:53], s[2:3]
	v_mul_f64 v[30:31], v[54:55], s[2:3]
	v_mul_f64 v[32:33], v[56:57], s[2:3]
	v_mul_f64 v[42:43], v[0:1], s[2:3]
	v_add_co_u32 v0, s0, v76, s6
	v_mul_f64 v[40:41], v[64:65], s[2:3]
	v_add_co_ci_u32_e64 v1, s0, s7, v77, s0
	v_mul_f64 v[44:45], v[66:67], s[2:3]
	v_mul_f64 v[46:47], v[68:69], s[2:3]
	global_store_b128 v[70:71], v[4:7], off
	v_add_co_u32 v4, s0, v0, s6
	s_delay_alu instid0(VALU_DEP_1) | instskip(SKIP_2) | instid1(VALU_DEP_1)
	v_add_co_ci_u32_e64 v5, s0, s7, v1, s0
	global_store_b128 v[72:73], v[8:11], off
	v_add_co_u32 v6, s0, v4, s6
	v_add_co_ci_u32_e64 v7, s0, s7, v5, s0
	global_store_b128 v[74:75], v[12:15], off
	v_add_co_u32 v8, s0, v6, s6
	s_delay_alu instid0(VALU_DEP_1) | instskip(SKIP_2) | instid1(VALU_DEP_1)
	v_add_co_ci_u32_e64 v9, s0, s7, v7, s0
	global_store_b128 v[76:77], v[16:19], off
	v_add_co_u32 v10, s0, v8, s6
	v_add_co_ci_u32_e64 v11, s0, s7, v9, s0
	;; [unrolled: 7-line block ×3, first 2 shown]
	global_store_b128 v[6:7], v[28:31], off
	global_store_b128 v[8:9], v[32:35], off
	;; [unrolled: 1-line block ×5, first 2 shown]
	s_and_b32 exec_lo, exec_lo, vcc_lo
	s_cbranch_execz .LBB0_15
; %bb.14:
	scratch_load_b64 v[18:19], off, off offset:212 ; 8-byte Folded Reload
	s_mul_i32 s0, s5, 0xffffec10
	s_mul_hi_u32 s8, s4, 0x2a0
	s_sub_i32 s0, s0, s4
	s_mul_i32 s1, s4, 0x2a0
	s_waitcnt vmcnt(0)
	global_load_b128 v[4:7], v[18:19], off offset:272
	ds_load_b128 v[8:11], v99 offset:272
	ds_load_b128 v[12:15], v99 offset:608
	s_waitcnt vmcnt(0) lgkmcnt(1)
	v_mul_f64 v[16:17], v[10:11], v[6:7]
	v_mul_f64 v[6:7], v[8:9], v[6:7]
	s_delay_alu instid0(VALU_DEP_2) | instskip(NEXT) | instid1(VALU_DEP_2)
	v_fma_f64 v[8:9], v[8:9], v[4:5], v[16:17]
	v_fma_f64 v[6:7], v[4:5], v[10:11], -v[6:7]
	s_delay_alu instid0(VALU_DEP_2) | instskip(NEXT) | instid1(VALU_DEP_2)
	v_mul_f64 v[4:5], v[8:9], s[2:3]
	v_mul_f64 v[6:7], v[6:7], s[2:3]
	v_mad_u64_u32 v[8:9], null, 0xffffec10, s4, v[0:1]
	s_delay_alu instid0(VALU_DEP_1) | instskip(SKIP_1) | instid1(SALU_CYCLE_1)
	v_add_nc_u32_e32 v9, s0, v9
	s_mul_i32 s0, s5, 0x2a0
	s_add_i32 s0, s8, s0
	global_store_b128 v[8:9], v[4:7], off
	global_load_b128 v[4:7], v[18:19], off offset:608
	s_waitcnt vmcnt(0) lgkmcnt(0)
	v_mul_f64 v[0:1], v[14:15], v[6:7]
	v_mul_f64 v[6:7], v[12:13], v[6:7]
	s_delay_alu instid0(VALU_DEP_2) | instskip(NEXT) | instid1(VALU_DEP_2)
	v_fma_f64 v[0:1], v[12:13], v[4:5], v[0:1]
	v_fma_f64 v[6:7], v[4:5], v[14:15], -v[6:7]
	s_delay_alu instid0(VALU_DEP_2) | instskip(NEXT) | instid1(VALU_DEP_2)
	v_mul_f64 v[4:5], v[0:1], s[2:3]
	v_mul_f64 v[6:7], v[6:7], s[2:3]
	v_add_co_u32 v0, vcc_lo, v8, s6
	v_add_co_ci_u32_e32 v1, vcc_lo, s7, v9, vcc_lo
	global_store_b128 v[0:1], v[4:7], off
	global_load_b128 v[4:7], v[18:19], off offset:944
	ds_load_b128 v[8:11], v99 offset:944
	ds_load_b128 v[12:15], v99 offset:1280
	v_add_co_u32 v0, vcc_lo, v0, s6
	v_add_co_ci_u32_e32 v1, vcc_lo, s7, v1, vcc_lo
	s_waitcnt vmcnt(0) lgkmcnt(1)
	v_mul_f64 v[16:17], v[10:11], v[6:7]
	v_mul_f64 v[6:7], v[8:9], v[6:7]
	s_delay_alu instid0(VALU_DEP_2) | instskip(NEXT) | instid1(VALU_DEP_2)
	v_fma_f64 v[8:9], v[8:9], v[4:5], v[16:17]
	v_fma_f64 v[6:7], v[4:5], v[10:11], -v[6:7]
	s_delay_alu instid0(VALU_DEP_2) | instskip(NEXT) | instid1(VALU_DEP_2)
	v_mul_f64 v[4:5], v[8:9], s[2:3]
	v_mul_f64 v[6:7], v[6:7], s[2:3]
	global_store_b128 v[0:1], v[4:7], off
	global_load_b128 v[4:7], v[18:19], off offset:1280
	s_waitcnt vmcnt(0) lgkmcnt(0)
	v_mul_f64 v[8:9], v[14:15], v[6:7]
	v_mul_f64 v[6:7], v[12:13], v[6:7]
	s_delay_alu instid0(VALU_DEP_2) | instskip(SKIP_3) | instid1(VALU_DEP_2)
	v_fma_f64 v[8:9], v[12:13], v[4:5], v[8:9]
	scratch_load_b32 v13, off, off offset:860 ; 4-byte Folded Reload
	v_fma_f64 v[6:7], v[4:5], v[14:15], -v[6:7]
	v_mul_f64 v[4:5], v[8:9], s[2:3]
	v_mul_f64 v[6:7], v[6:7], s[2:3]
	s_waitcnt vmcnt(0)
	v_mad_u64_u32 v[10:11], null, s4, v13, 0
	s_delay_alu instid0(VALU_DEP_1) | instskip(NEXT) | instid1(VALU_DEP_1)
	v_mov_b32_e32 v8, v11
	v_mad_u64_u32 v[11:12], null, s5, v13, v[8:9]
	s_delay_alu instid0(VALU_DEP_1) | instskip(NEXT) | instid1(VALU_DEP_1)
	v_lshlrev_b64 v[8:9], 4, v[10:11]
	v_add_co_u32 v8, vcc_lo, v2, v8
	s_delay_alu instid0(VALU_DEP_2)
	v_add_co_ci_u32_e32 v9, vcc_lo, v3, v9, vcc_lo
	v_add_co_u32 v0, vcc_lo, v0, s1
	v_add_co_ci_u32_e32 v1, vcc_lo, s0, v1, vcc_lo
	global_store_b128 v[8:9], v[4:7], off
	global_load_b128 v[4:7], v[18:19], off offset:1616
	ds_load_b128 v[8:11], v99 offset:1616
	ds_load_b128 v[12:15], v99 offset:1952
	s_waitcnt vmcnt(0) lgkmcnt(1)
	v_mul_f64 v[16:17], v[10:11], v[6:7]
	v_mul_f64 v[6:7], v[8:9], v[6:7]
	s_delay_alu instid0(VALU_DEP_2) | instskip(NEXT) | instid1(VALU_DEP_2)
	v_fma_f64 v[8:9], v[8:9], v[4:5], v[16:17]
	v_fma_f64 v[6:7], v[4:5], v[10:11], -v[6:7]
	s_delay_alu instid0(VALU_DEP_2) | instskip(NEXT) | instid1(VALU_DEP_2)
	v_mul_f64 v[4:5], v[8:9], s[2:3]
	v_mul_f64 v[6:7], v[6:7], s[2:3]
	global_store_b128 v[0:1], v[4:7], off
	global_load_b128 v[4:7], v[18:19], off offset:1952
	v_add_co_u32 v0, vcc_lo, v0, s6
	v_add_co_ci_u32_e32 v1, vcc_lo, s7, v1, vcc_lo
	s_waitcnt vmcnt(0) lgkmcnt(0)
	v_mul_f64 v[8:9], v[14:15], v[6:7]
	v_mul_f64 v[6:7], v[12:13], v[6:7]
	s_delay_alu instid0(VALU_DEP_2) | instskip(NEXT) | instid1(VALU_DEP_2)
	v_fma_f64 v[8:9], v[12:13], v[4:5], v[8:9]
	v_fma_f64 v[6:7], v[4:5], v[14:15], -v[6:7]
	s_delay_alu instid0(VALU_DEP_2) | instskip(NEXT) | instid1(VALU_DEP_2)
	v_mul_f64 v[4:5], v[8:9], s[2:3]
	v_mul_f64 v[6:7], v[6:7], s[2:3]
	global_store_b128 v[0:1], v[4:7], off
	global_load_b128 v[4:7], v[18:19], off offset:2288
	ds_load_b128 v[8:11], v99 offset:2288
	ds_load_b128 v[12:15], v99 offset:2624
	v_add_co_u32 v0, vcc_lo, v0, s6
	v_add_co_ci_u32_e32 v1, vcc_lo, s7, v1, vcc_lo
	s_waitcnt vmcnt(0) lgkmcnt(1)
	v_mul_f64 v[16:17], v[10:11], v[6:7]
	v_mul_f64 v[6:7], v[8:9], v[6:7]
	s_delay_alu instid0(VALU_DEP_2) | instskip(NEXT) | instid1(VALU_DEP_2)
	v_fma_f64 v[8:9], v[8:9], v[4:5], v[16:17]
	v_fma_f64 v[6:7], v[4:5], v[10:11], -v[6:7]
	s_delay_alu instid0(VALU_DEP_2) | instskip(NEXT) | instid1(VALU_DEP_2)
	v_mul_f64 v[4:5], v[8:9], s[2:3]
	v_mul_f64 v[6:7], v[6:7], s[2:3]
	global_store_b128 v[0:1], v[4:7], off
	global_load_b128 v[4:7], v[18:19], off offset:2624
	s_waitcnt vmcnt(0) lgkmcnt(0)
	v_mul_f64 v[8:9], v[14:15], v[6:7]
	v_mul_f64 v[6:7], v[12:13], v[6:7]
	s_delay_alu instid0(VALU_DEP_2) | instskip(SKIP_3) | instid1(VALU_DEP_2)
	v_fma_f64 v[8:9], v[12:13], v[4:5], v[8:9]
	scratch_load_b32 v13, off, off offset:856 ; 4-byte Folded Reload
	v_fma_f64 v[6:7], v[4:5], v[14:15], -v[6:7]
	v_mul_f64 v[4:5], v[8:9], s[2:3]
	v_mul_f64 v[6:7], v[6:7], s[2:3]
	s_waitcnt vmcnt(0)
	v_mad_u64_u32 v[10:11], null, s4, v13, 0
	s_delay_alu instid0(VALU_DEP_1) | instskip(NEXT) | instid1(VALU_DEP_1)
	v_mov_b32_e32 v8, v11
	v_mad_u64_u32 v[11:12], null, s5, v13, v[8:9]
	s_delay_alu instid0(VALU_DEP_1) | instskip(NEXT) | instid1(VALU_DEP_1)
	v_lshlrev_b64 v[8:9], 4, v[10:11]
	v_add_co_u32 v8, vcc_lo, v2, v8
	s_delay_alu instid0(VALU_DEP_2)
	v_add_co_ci_u32_e32 v9, vcc_lo, v3, v9, vcc_lo
	v_add_co_u32 v0, vcc_lo, v0, s1
	v_add_co_ci_u32_e32 v1, vcc_lo, s0, v1, vcc_lo
	global_store_b128 v[8:9], v[4:7], off
	global_load_b128 v[4:7], v[18:19], off offset:2960
	ds_load_b128 v[8:11], v99 offset:2960
	ds_load_b128 v[12:15], v99 offset:3296
	s_waitcnt vmcnt(0) lgkmcnt(1)
	v_mul_f64 v[16:17], v[10:11], v[6:7]
	v_mul_f64 v[6:7], v[8:9], v[6:7]
	s_delay_alu instid0(VALU_DEP_2) | instskip(NEXT) | instid1(VALU_DEP_2)
	v_fma_f64 v[8:9], v[8:9], v[4:5], v[16:17]
	v_fma_f64 v[6:7], v[4:5], v[10:11], -v[6:7]
	s_delay_alu instid0(VALU_DEP_2) | instskip(NEXT) | instid1(VALU_DEP_2)
	v_mul_f64 v[4:5], v[8:9], s[2:3]
	v_mul_f64 v[6:7], v[6:7], s[2:3]
	global_store_b128 v[0:1], v[4:7], off
	global_load_b128 v[4:7], v[18:19], off offset:3296
	v_add_co_u32 v0, vcc_lo, v0, s6
	v_add_co_ci_u32_e32 v1, vcc_lo, s7, v1, vcc_lo
	s_waitcnt vmcnt(0) lgkmcnt(0)
	v_mul_f64 v[8:9], v[14:15], v[6:7]
	v_mul_f64 v[6:7], v[12:13], v[6:7]
	s_delay_alu instid0(VALU_DEP_2) | instskip(NEXT) | instid1(VALU_DEP_2)
	v_fma_f64 v[8:9], v[12:13], v[4:5], v[8:9]
	v_fma_f64 v[6:7], v[4:5], v[14:15], -v[6:7]
	s_delay_alu instid0(VALU_DEP_2) | instskip(NEXT) | instid1(VALU_DEP_2)
	v_mul_f64 v[4:5], v[8:9], s[2:3]
	v_mul_f64 v[6:7], v[6:7], s[2:3]
	global_store_b128 v[0:1], v[4:7], off
	global_load_b128 v[4:7], v[18:19], off offset:3632
	ds_load_b128 v[8:11], v99 offset:3632
	ds_load_b128 v[12:15], v99 offset:3968
	v_add_co_u32 v0, vcc_lo, v0, s6
	v_add_co_ci_u32_e32 v1, vcc_lo, s7, v1, vcc_lo
	s_waitcnt vmcnt(0) lgkmcnt(1)
	v_mul_f64 v[16:17], v[10:11], v[6:7]
	v_mul_f64 v[6:7], v[8:9], v[6:7]
	s_delay_alu instid0(VALU_DEP_2) | instskip(NEXT) | instid1(VALU_DEP_2)
	v_fma_f64 v[8:9], v[8:9], v[4:5], v[16:17]
	v_fma_f64 v[6:7], v[4:5], v[10:11], -v[6:7]
	s_delay_alu instid0(VALU_DEP_2) | instskip(NEXT) | instid1(VALU_DEP_2)
	v_mul_f64 v[4:5], v[8:9], s[2:3]
	v_mul_f64 v[6:7], v[6:7], s[2:3]
	global_store_b128 v[0:1], v[4:7], off
	global_load_b128 v[4:7], v[18:19], off offset:3968
	scratch_load_b64 v[18:19], off, off offset:220 ; 8-byte Folded Reload
	s_waitcnt vmcnt(1) lgkmcnt(0)
	v_mul_f64 v[8:9], v[14:15], v[6:7]
	v_mul_f64 v[6:7], v[12:13], v[6:7]
	s_delay_alu instid0(VALU_DEP_2) | instskip(SKIP_3) | instid1(VALU_DEP_2)
	v_fma_f64 v[8:9], v[12:13], v[4:5], v[8:9]
	scratch_load_b32 v13, off, off offset:852 ; 4-byte Folded Reload
	v_fma_f64 v[6:7], v[4:5], v[14:15], -v[6:7]
	v_mul_f64 v[4:5], v[8:9], s[2:3]
	v_mul_f64 v[6:7], v[6:7], s[2:3]
	s_waitcnt vmcnt(0)
	v_mad_u64_u32 v[10:11], null, s4, v13, 0
	s_delay_alu instid0(VALU_DEP_1) | instskip(NEXT) | instid1(VALU_DEP_1)
	v_mov_b32_e32 v8, v11
	v_mad_u64_u32 v[11:12], null, s5, v13, v[8:9]
	s_delay_alu instid0(VALU_DEP_1) | instskip(NEXT) | instid1(VALU_DEP_1)
	v_lshlrev_b64 v[8:9], 4, v[10:11]
	v_add_co_u32 v8, vcc_lo, v2, v8
	s_delay_alu instid0(VALU_DEP_2)
	v_add_co_ci_u32_e32 v9, vcc_lo, v3, v9, vcc_lo
	v_add_co_u32 v0, vcc_lo, v0, s1
	v_add_co_ci_u32_e32 v1, vcc_lo, s0, v1, vcc_lo
	global_store_b128 v[8:9], v[4:7], off
	global_load_b128 v[4:7], v[18:19], off offset:208
	ds_load_b128 v[8:11], v99 offset:4304
	ds_load_b128 v[12:15], v99 offset:4640
	s_waitcnt vmcnt(0) lgkmcnt(1)
	v_mul_f64 v[16:17], v[10:11], v[6:7]
	v_mul_f64 v[6:7], v[8:9], v[6:7]
	s_delay_alu instid0(VALU_DEP_2) | instskip(NEXT) | instid1(VALU_DEP_2)
	v_fma_f64 v[8:9], v[8:9], v[4:5], v[16:17]
	v_fma_f64 v[6:7], v[4:5], v[10:11], -v[6:7]
	s_delay_alu instid0(VALU_DEP_2) | instskip(NEXT) | instid1(VALU_DEP_2)
	v_mul_f64 v[4:5], v[8:9], s[2:3]
	v_mul_f64 v[6:7], v[6:7], s[2:3]
	global_store_b128 v[0:1], v[4:7], off
	global_load_b128 v[4:7], v[18:19], off offset:544
	v_add_co_u32 v0, vcc_lo, v0, s6
	v_add_co_ci_u32_e32 v1, vcc_lo, s7, v1, vcc_lo
	s_waitcnt vmcnt(0) lgkmcnt(0)
	v_mul_f64 v[8:9], v[14:15], v[6:7]
	v_mul_f64 v[6:7], v[12:13], v[6:7]
	s_delay_alu instid0(VALU_DEP_2) | instskip(NEXT) | instid1(VALU_DEP_2)
	v_fma_f64 v[8:9], v[12:13], v[4:5], v[8:9]
	v_fma_f64 v[6:7], v[4:5], v[14:15], -v[6:7]
	s_delay_alu instid0(VALU_DEP_2) | instskip(NEXT) | instid1(VALU_DEP_2)
	v_mul_f64 v[4:5], v[8:9], s[2:3]
	v_mul_f64 v[6:7], v[6:7], s[2:3]
	global_store_b128 v[0:1], v[4:7], off
	global_load_b128 v[4:7], v[18:19], off offset:880
	ds_load_b128 v[8:11], v99 offset:4976
	ds_load_b128 v[12:15], v99 offset:5312
	s_waitcnt vmcnt(0) lgkmcnt(1)
	v_mul_f64 v[16:17], v[10:11], v[6:7]
	v_mul_f64 v[6:7], v[8:9], v[6:7]
	s_delay_alu instid0(VALU_DEP_2) | instskip(SKIP_4) | instid1(VALU_DEP_3)
	v_fma_f64 v[8:9], v[8:9], v[4:5], v[16:17]
	scratch_load_b32 v16, off, off offset:848 ; 4-byte Folded Reload
	v_fma_f64 v[6:7], v[4:5], v[10:11], -v[6:7]
	v_mul_f64 v[4:5], v[8:9], s[2:3]
	v_add_co_u32 v8, vcc_lo, v0, s6
	v_mul_f64 v[6:7], v[6:7], s[2:3]
	v_add_co_ci_u32_e32 v9, vcc_lo, s7, v1, vcc_lo
	global_store_b128 v[8:9], v[4:7], off
	s_waitcnt vmcnt(0)
	v_lshlrev_b32_e32 v0, 4, v16
	v_mad_u64_u32 v[10:11], null, s4, v16, 0
	global_load_b128 v[4:7], v0, s[12:13]
	s_waitcnt vmcnt(0) lgkmcnt(0)
	v_mul_f64 v[0:1], v[14:15], v[6:7]
	v_mul_f64 v[6:7], v[12:13], v[6:7]
	s_delay_alu instid0(VALU_DEP_2) | instskip(NEXT) | instid1(VALU_DEP_2)
	v_fma_f64 v[0:1], v[12:13], v[4:5], v[0:1]
	v_fma_f64 v[6:7], v[4:5], v[14:15], -v[6:7]
	s_delay_alu instid0(VALU_DEP_2) | instskip(NEXT) | instid1(VALU_DEP_2)
	v_mul_f64 v[4:5], v[0:1], s[2:3]
	v_mul_f64 v[6:7], v[6:7], s[2:3]
	v_mov_b32_e32 v0, v11
	s_delay_alu instid0(VALU_DEP_1) | instskip(NEXT) | instid1(VALU_DEP_1)
	v_mad_u64_u32 v[11:12], null, s5, v16, v[0:1]
	v_lshlrev_b64 v[0:1], 4, v[10:11]
	s_delay_alu instid0(VALU_DEP_1) | instskip(NEXT) | instid1(VALU_DEP_2)
	v_add_co_u32 v0, vcc_lo, v2, v0
	v_add_co_ci_u32_e32 v1, vcc_lo, v3, v1, vcc_lo
	global_store_b128 v[0:1], v[4:7], off
	global_load_b128 v[0:3], v[18:19], off offset:1552
	ds_load_b128 v[4:7], v99 offset:5648
	s_waitcnt vmcnt(0) lgkmcnt(0)
	v_mul_f64 v[10:11], v[6:7], v[2:3]
	v_mul_f64 v[2:3], v[4:5], v[2:3]
	s_delay_alu instid0(VALU_DEP_2) | instskip(NEXT) | instid1(VALU_DEP_2)
	v_fma_f64 v[4:5], v[4:5], v[0:1], v[10:11]
	v_fma_f64 v[2:3], v[0:1], v[6:7], -v[2:3]
	s_delay_alu instid0(VALU_DEP_2) | instskip(NEXT) | instid1(VALU_DEP_2)
	v_mul_f64 v[0:1], v[4:5], s[2:3]
	v_mul_f64 v[2:3], v[2:3], s[2:3]
	v_add_co_u32 v4, vcc_lo, v8, s1
	v_add_co_ci_u32_e32 v5, vcc_lo, s0, v9, vcc_lo
	global_store_b128 v[4:5], v[0:3], off
.LBB0_15:
	s_nop 0
	s_sendmsg sendmsg(MSG_DEALLOC_VGPRS)
	s_endpgm
	.section	.rodata,"a",@progbits
	.p2align	6, 0x0
	.amdhsa_kernel bluestein_single_back_len357_dim1_dp_op_CI_CI
		.amdhsa_group_segment_fixed_size 62832
		.amdhsa_private_segment_fixed_size 1020
		.amdhsa_kernarg_size 104
		.amdhsa_user_sgpr_count 15
		.amdhsa_user_sgpr_dispatch_ptr 0
		.amdhsa_user_sgpr_queue_ptr 0
		.amdhsa_user_sgpr_kernarg_segment_ptr 1
		.amdhsa_user_sgpr_dispatch_id 0
		.amdhsa_user_sgpr_private_segment_size 0
		.amdhsa_wavefront_size32 1
		.amdhsa_uses_dynamic_stack 0
		.amdhsa_enable_private_segment 1
		.amdhsa_system_sgpr_workgroup_id_x 1
		.amdhsa_system_sgpr_workgroup_id_y 0
		.amdhsa_system_sgpr_workgroup_id_z 0
		.amdhsa_system_sgpr_workgroup_info 0
		.amdhsa_system_vgpr_workitem_id 0
		.amdhsa_next_free_vgpr 256
		.amdhsa_next_free_sgpr 60
		.amdhsa_reserve_vcc 1
		.amdhsa_float_round_mode_32 0
		.amdhsa_float_round_mode_16_64 0
		.amdhsa_float_denorm_mode_32 3
		.amdhsa_float_denorm_mode_16_64 3
		.amdhsa_dx10_clamp 1
		.amdhsa_ieee_mode 1
		.amdhsa_fp16_overflow 0
		.amdhsa_workgroup_processor_mode 1
		.amdhsa_memory_ordered 1
		.amdhsa_forward_progress 0
		.amdhsa_shared_vgpr_count 0
		.amdhsa_exception_fp_ieee_invalid_op 0
		.amdhsa_exception_fp_denorm_src 0
		.amdhsa_exception_fp_ieee_div_zero 0
		.amdhsa_exception_fp_ieee_overflow 0
		.amdhsa_exception_fp_ieee_underflow 0
		.amdhsa_exception_fp_ieee_inexact 0
		.amdhsa_exception_int_div_zero 0
	.end_amdhsa_kernel
	.text
.Lfunc_end0:
	.size	bluestein_single_back_len357_dim1_dp_op_CI_CI, .Lfunc_end0-bluestein_single_back_len357_dim1_dp_op_CI_CI
                                        ; -- End function
	.section	.AMDGPU.csdata,"",@progbits
; Kernel info:
; codeLenInByte = 49796
; NumSgprs: 62
; NumVgprs: 256
; ScratchSize: 1020
; MemoryBound: 0
; FloatMode: 240
; IeeeMode: 1
; LDSByteSize: 62832 bytes/workgroup (compile time only)
; SGPRBlocks: 7
; VGPRBlocks: 31
; NumSGPRsForWavesPerEU: 62
; NumVGPRsForWavesPerEU: 256
; Occupancy: 3
; WaveLimiterHint : 1
; COMPUTE_PGM_RSRC2:SCRATCH_EN: 1
; COMPUTE_PGM_RSRC2:USER_SGPR: 15
; COMPUTE_PGM_RSRC2:TRAP_HANDLER: 0
; COMPUTE_PGM_RSRC2:TGID_X_EN: 1
; COMPUTE_PGM_RSRC2:TGID_Y_EN: 0
; COMPUTE_PGM_RSRC2:TGID_Z_EN: 0
; COMPUTE_PGM_RSRC2:TIDIG_COMP_CNT: 0
	.text
	.p2alignl 7, 3214868480
	.fill 96, 4, 3214868480
	.type	__hip_cuid_6fd4c5bbb9615836,@object ; @__hip_cuid_6fd4c5bbb9615836
	.section	.bss,"aw",@nobits
	.globl	__hip_cuid_6fd4c5bbb9615836
__hip_cuid_6fd4c5bbb9615836:
	.byte	0                               ; 0x0
	.size	__hip_cuid_6fd4c5bbb9615836, 1

	.ident	"AMD clang version 19.0.0git (https://github.com/RadeonOpenCompute/llvm-project roc-6.4.0 25133 c7fe45cf4b819c5991fe208aaa96edf142730f1d)"
	.section	".note.GNU-stack","",@progbits
	.addrsig
	.addrsig_sym __hip_cuid_6fd4c5bbb9615836
	.amdgpu_metadata
---
amdhsa.kernels:
  - .args:
      - .actual_access:  read_only
        .address_space:  global
        .offset:         0
        .size:           8
        .value_kind:     global_buffer
      - .actual_access:  read_only
        .address_space:  global
        .offset:         8
        .size:           8
        .value_kind:     global_buffer
      - .actual_access:  read_only
        .address_space:  global
        .offset:         16
        .size:           8
        .value_kind:     global_buffer
      - .actual_access:  read_only
        .address_space:  global
        .offset:         24
        .size:           8
        .value_kind:     global_buffer
      - .actual_access:  read_only
        .address_space:  global
        .offset:         32
        .size:           8
        .value_kind:     global_buffer
      - .offset:         40
        .size:           8
        .value_kind:     by_value
      - .address_space:  global
        .offset:         48
        .size:           8
        .value_kind:     global_buffer
      - .address_space:  global
        .offset:         56
        .size:           8
        .value_kind:     global_buffer
      - .address_space:  global
        .offset:         64
        .size:           8
        .value_kind:     global_buffer
      - .address_space:  global
        .offset:         72
        .size:           8
        .value_kind:     global_buffer
      - .offset:         80
        .size:           4
        .value_kind:     by_value
      - .address_space:  global
        .offset:         88
        .size:           8
        .value_kind:     global_buffer
      - .address_space:  global
        .offset:         96
        .size:           8
        .value_kind:     global_buffer
    .group_segment_fixed_size: 62832
    .kernarg_segment_align: 8
    .kernarg_segment_size: 104
    .language:       OpenCL C
    .language_version:
      - 2
      - 0
    .max_flat_workgroup_size: 187
    .name:           bluestein_single_back_len357_dim1_dp_op_CI_CI
    .private_segment_fixed_size: 1020
    .sgpr_count:     62
    .sgpr_spill_count: 0
    .symbol:         bluestein_single_back_len357_dim1_dp_op_CI_CI.kd
    .uniform_work_group_size: 1
    .uses_dynamic_stack: false
    .vgpr_count:     256
    .vgpr_spill_count: 408
    .wavefront_size: 32
    .workgroup_processor_mode: 1
amdhsa.target:   amdgcn-amd-amdhsa--gfx1100
amdhsa.version:
  - 1
  - 2
...

	.end_amdgpu_metadata
